;; amdgpu-corpus repo=ROCm/rocFFT kind=compiled arch=gfx1201 opt=O3
	.text
	.amdgcn_target "amdgcn-amd-amdhsa--gfx1201"
	.amdhsa_code_object_version 6
	.protected	fft_rtc_fwd_len546_factors_13_3_7_2_wgs_117_tpt_39_halfLds_dp_ip_CI_unitstride_sbrr_C2R_dirReg ; -- Begin function fft_rtc_fwd_len546_factors_13_3_7_2_wgs_117_tpt_39_halfLds_dp_ip_CI_unitstride_sbrr_C2R_dirReg
	.globl	fft_rtc_fwd_len546_factors_13_3_7_2_wgs_117_tpt_39_halfLds_dp_ip_CI_unitstride_sbrr_C2R_dirReg
	.p2align	8
	.type	fft_rtc_fwd_len546_factors_13_3_7_2_wgs_117_tpt_39_halfLds_dp_ip_CI_unitstride_sbrr_C2R_dirReg,@function
fft_rtc_fwd_len546_factors_13_3_7_2_wgs_117_tpt_39_halfLds_dp_ip_CI_unitstride_sbrr_C2R_dirReg: ; @fft_rtc_fwd_len546_factors_13_3_7_2_wgs_117_tpt_39_halfLds_dp_ip_CI_unitstride_sbrr_C2R_dirReg
; %bb.0:
	s_load_b128 s[4:7], s[0:1], 0x0
	v_mul_u32_u24_e32 v1, 0x691, v0
	s_clause 0x1
	s_load_b64 s[8:9], s[0:1], 0x50
	s_load_b64 s[10:11], s[0:1], 0x18
	v_mov_b32_e32 v5, 0
	v_lshrrev_b32_e32 v1, 16, v1
	s_delay_alu instid0(VALU_DEP_1) | instskip(SKIP_3) | instid1(VALU_DEP_1)
	v_mad_co_u64_u32 v[1:2], null, ttmp9, 3, v[1:2]
	v_mov_b32_e32 v3, 0
	v_mov_b32_e32 v4, 0
	;; [unrolled: 1-line block ×4, first 2 shown]
	s_wait_kmcnt 0x0
	v_cmp_lt_u64_e64 s2, s[6:7], 2
	v_mov_b32_e32 v9, v1
	s_delay_alu instid0(VALU_DEP_2)
	s_and_b32 vcc_lo, exec_lo, s2
	s_cbranch_vccnz .LBB0_8
; %bb.1:
	s_load_b64 s[2:3], s[0:1], 0x10
	v_dual_mov_b32 v3, 0 :: v_dual_mov_b32 v8, v2
	v_dual_mov_b32 v4, 0 :: v_dual_mov_b32 v7, v1
	s_add_nc_u64 s[12:13], s[10:11], 8
	s_mov_b64 s[14:15], 1
	s_wait_kmcnt 0x0
	s_add_nc_u64 s[16:17], s[2:3], 8
	s_mov_b32 s3, 0
.LBB0_2:                                ; =>This Inner Loop Header: Depth=1
	s_load_b64 s[18:19], s[16:17], 0x0
                                        ; implicit-def: $vgpr9_vgpr10
	s_mov_b32 s2, exec_lo
	s_wait_kmcnt 0x0
	v_or_b32_e32 v6, s19, v8
	s_delay_alu instid0(VALU_DEP_1)
	v_cmpx_ne_u64_e32 0, v[5:6]
	s_wait_alu 0xfffe
	s_xor_b32 s20, exec_lo, s2
	s_cbranch_execz .LBB0_4
; %bb.3:                                ;   in Loop: Header=BB0_2 Depth=1
	s_cvt_f32_u32 s2, s18
	s_cvt_f32_u32 s21, s19
	s_sub_nc_u64 s[24:25], 0, s[18:19]
	s_wait_alu 0xfffe
	s_delay_alu instid0(SALU_CYCLE_1) | instskip(SKIP_1) | instid1(SALU_CYCLE_2)
	s_fmamk_f32 s2, s21, 0x4f800000, s2
	s_wait_alu 0xfffe
	v_s_rcp_f32 s2, s2
	s_delay_alu instid0(TRANS32_DEP_1) | instskip(SKIP_1) | instid1(SALU_CYCLE_2)
	s_mul_f32 s2, s2, 0x5f7ffffc
	s_wait_alu 0xfffe
	s_mul_f32 s21, s2, 0x2f800000
	s_wait_alu 0xfffe
	s_delay_alu instid0(SALU_CYCLE_2) | instskip(SKIP_1) | instid1(SALU_CYCLE_2)
	s_trunc_f32 s21, s21
	s_wait_alu 0xfffe
	s_fmamk_f32 s2, s21, 0xcf800000, s2
	s_cvt_u32_f32 s23, s21
	s_wait_alu 0xfffe
	s_delay_alu instid0(SALU_CYCLE_1) | instskip(SKIP_1) | instid1(SALU_CYCLE_2)
	s_cvt_u32_f32 s22, s2
	s_wait_alu 0xfffe
	s_mul_u64 s[26:27], s[24:25], s[22:23]
	s_wait_alu 0xfffe
	s_mul_hi_u32 s29, s22, s27
	s_mul_i32 s28, s22, s27
	s_mul_hi_u32 s2, s22, s26
	s_mul_i32 s30, s23, s26
	s_wait_alu 0xfffe
	s_add_nc_u64 s[28:29], s[2:3], s[28:29]
	s_mul_hi_u32 s21, s23, s26
	s_mul_hi_u32 s31, s23, s27
	s_add_co_u32 s2, s28, s30
	s_wait_alu 0xfffe
	s_add_co_ci_u32 s2, s29, s21
	s_mul_i32 s26, s23, s27
	s_add_co_ci_u32 s27, s31, 0
	s_wait_alu 0xfffe
	s_add_nc_u64 s[26:27], s[2:3], s[26:27]
	s_wait_alu 0xfffe
	v_add_co_u32 v2, s2, s22, s26
	s_delay_alu instid0(VALU_DEP_1) | instskip(SKIP_1) | instid1(VALU_DEP_1)
	s_cmp_lg_u32 s2, 0
	s_add_co_ci_u32 s23, s23, s27
	v_readfirstlane_b32 s22, v2
	s_wait_alu 0xfffe
	s_delay_alu instid0(VALU_DEP_1)
	s_mul_u64 s[24:25], s[24:25], s[22:23]
	s_wait_alu 0xfffe
	s_mul_hi_u32 s27, s22, s25
	s_mul_i32 s26, s22, s25
	s_mul_hi_u32 s2, s22, s24
	s_mul_i32 s28, s23, s24
	s_wait_alu 0xfffe
	s_add_nc_u64 s[26:27], s[2:3], s[26:27]
	s_mul_hi_u32 s21, s23, s24
	s_mul_hi_u32 s22, s23, s25
	s_wait_alu 0xfffe
	s_add_co_u32 s2, s26, s28
	s_add_co_ci_u32 s2, s27, s21
	s_mul_i32 s24, s23, s25
	s_add_co_ci_u32 s25, s22, 0
	s_wait_alu 0xfffe
	s_add_nc_u64 s[24:25], s[2:3], s[24:25]
	s_wait_alu 0xfffe
	v_add_co_u32 v2, s2, v2, s24
	s_delay_alu instid0(VALU_DEP_1) | instskip(SKIP_1) | instid1(VALU_DEP_1)
	s_cmp_lg_u32 s2, 0
	s_add_co_ci_u32 s2, s23, s25
	v_mul_hi_u32 v6, v7, v2
	s_wait_alu 0xfffe
	v_mad_co_u64_u32 v[9:10], null, v7, s2, 0
	v_mad_co_u64_u32 v[11:12], null, v8, v2, 0
	;; [unrolled: 1-line block ×3, first 2 shown]
	s_delay_alu instid0(VALU_DEP_3) | instskip(SKIP_1) | instid1(VALU_DEP_4)
	v_add_co_u32 v2, vcc_lo, v6, v9
	s_wait_alu 0xfffd
	v_add_co_ci_u32_e32 v6, vcc_lo, 0, v10, vcc_lo
	s_delay_alu instid0(VALU_DEP_2) | instskip(SKIP_1) | instid1(VALU_DEP_2)
	v_add_co_u32 v2, vcc_lo, v2, v11
	s_wait_alu 0xfffd
	v_add_co_ci_u32_e32 v2, vcc_lo, v6, v12, vcc_lo
	s_wait_alu 0xfffd
	v_add_co_ci_u32_e32 v6, vcc_lo, 0, v14, vcc_lo
	s_delay_alu instid0(VALU_DEP_2) | instskip(SKIP_1) | instid1(VALU_DEP_2)
	v_add_co_u32 v2, vcc_lo, v2, v13
	s_wait_alu 0xfffd
	v_add_co_ci_u32_e32 v6, vcc_lo, 0, v6, vcc_lo
	s_delay_alu instid0(VALU_DEP_2) | instskip(SKIP_1) | instid1(VALU_DEP_3)
	v_mul_lo_u32 v11, s19, v2
	v_mad_co_u64_u32 v[9:10], null, s18, v2, 0
	v_mul_lo_u32 v12, s18, v6
	s_delay_alu instid0(VALU_DEP_2) | instskip(NEXT) | instid1(VALU_DEP_2)
	v_sub_co_u32 v9, vcc_lo, v7, v9
	v_add3_u32 v10, v10, v12, v11
	s_delay_alu instid0(VALU_DEP_1) | instskip(SKIP_1) | instid1(VALU_DEP_1)
	v_sub_nc_u32_e32 v11, v8, v10
	s_wait_alu 0xfffd
	v_subrev_co_ci_u32_e64 v11, s2, s19, v11, vcc_lo
	v_add_co_u32 v12, s2, v2, 2
	s_wait_alu 0xf1ff
	v_add_co_ci_u32_e64 v13, s2, 0, v6, s2
	v_sub_co_u32 v14, s2, v9, s18
	v_sub_co_ci_u32_e32 v10, vcc_lo, v8, v10, vcc_lo
	s_wait_alu 0xf1ff
	v_subrev_co_ci_u32_e64 v11, s2, 0, v11, s2
	s_delay_alu instid0(VALU_DEP_3) | instskip(NEXT) | instid1(VALU_DEP_3)
	v_cmp_le_u32_e32 vcc_lo, s18, v14
	v_cmp_eq_u32_e64 s2, s19, v10
	s_wait_alu 0xfffd
	v_cndmask_b32_e64 v14, 0, -1, vcc_lo
	v_cmp_le_u32_e32 vcc_lo, s19, v11
	s_wait_alu 0xfffd
	v_cndmask_b32_e64 v15, 0, -1, vcc_lo
	v_cmp_le_u32_e32 vcc_lo, s18, v9
	;; [unrolled: 3-line block ×3, first 2 shown]
	s_wait_alu 0xfffd
	v_cndmask_b32_e64 v16, 0, -1, vcc_lo
	v_cmp_eq_u32_e32 vcc_lo, s19, v11
	s_wait_alu 0xf1ff
	s_delay_alu instid0(VALU_DEP_2)
	v_cndmask_b32_e64 v9, v16, v9, s2
	s_wait_alu 0xfffd
	v_cndmask_b32_e32 v11, v15, v14, vcc_lo
	v_add_co_u32 v14, vcc_lo, v2, 1
	s_wait_alu 0xfffd
	v_add_co_ci_u32_e32 v15, vcc_lo, 0, v6, vcc_lo
	s_delay_alu instid0(VALU_DEP_3) | instskip(SKIP_1) | instid1(VALU_DEP_2)
	v_cmp_ne_u32_e32 vcc_lo, 0, v11
	s_wait_alu 0xfffd
	v_dual_cndmask_b32 v10, v15, v13 :: v_dual_cndmask_b32 v11, v14, v12
	v_cmp_ne_u32_e32 vcc_lo, 0, v9
	s_wait_alu 0xfffd
	s_delay_alu instid0(VALU_DEP_2) | instskip(NEXT) | instid1(VALU_DEP_3)
	v_cndmask_b32_e32 v10, v6, v10, vcc_lo
	v_cndmask_b32_e32 v9, v2, v11, vcc_lo
.LBB0_4:                                ;   in Loop: Header=BB0_2 Depth=1
	s_wait_alu 0xfffe
	s_and_not1_saveexec_b32 s2, s20
	s_cbranch_execz .LBB0_6
; %bb.5:                                ;   in Loop: Header=BB0_2 Depth=1
	v_cvt_f32_u32_e32 v2, s18
	s_sub_co_i32 s20, 0, s18
	s_delay_alu instid0(VALU_DEP_1) | instskip(NEXT) | instid1(TRANS32_DEP_1)
	v_rcp_iflag_f32_e32 v2, v2
	v_mul_f32_e32 v2, 0x4f7ffffe, v2
	s_delay_alu instid0(VALU_DEP_1) | instskip(SKIP_1) | instid1(VALU_DEP_1)
	v_cvt_u32_f32_e32 v2, v2
	s_wait_alu 0xfffe
	v_mul_lo_u32 v6, s20, v2
	s_delay_alu instid0(VALU_DEP_1) | instskip(NEXT) | instid1(VALU_DEP_1)
	v_mul_hi_u32 v6, v2, v6
	v_add_nc_u32_e32 v2, v2, v6
	s_delay_alu instid0(VALU_DEP_1) | instskip(NEXT) | instid1(VALU_DEP_1)
	v_mul_hi_u32 v2, v7, v2
	v_mul_lo_u32 v6, v2, s18
	v_add_nc_u32_e32 v9, 1, v2
	s_delay_alu instid0(VALU_DEP_2) | instskip(NEXT) | instid1(VALU_DEP_1)
	v_sub_nc_u32_e32 v6, v7, v6
	v_subrev_nc_u32_e32 v10, s18, v6
	v_cmp_le_u32_e32 vcc_lo, s18, v6
	s_wait_alu 0xfffd
	s_delay_alu instid0(VALU_DEP_2) | instskip(SKIP_2) | instid1(VALU_DEP_3)
	v_cndmask_b32_e32 v6, v6, v10, vcc_lo
	v_mov_b32_e32 v10, v5
	v_cndmask_b32_e32 v2, v2, v9, vcc_lo
	v_cmp_le_u32_e32 vcc_lo, s18, v6
	s_delay_alu instid0(VALU_DEP_2) | instskip(SKIP_1) | instid1(VALU_DEP_1)
	v_add_nc_u32_e32 v9, 1, v2
	s_wait_alu 0xfffd
	v_cndmask_b32_e32 v9, v2, v9, vcc_lo
.LBB0_6:                                ;   in Loop: Header=BB0_2 Depth=1
	s_wait_alu 0xfffe
	s_or_b32 exec_lo, exec_lo, s2
	s_load_b64 s[20:21], s[12:13], 0x0
	v_mul_lo_u32 v2, v10, s18
	v_mul_lo_u32 v6, v9, s19
	v_mad_co_u64_u32 v[11:12], null, v9, s18, 0
	s_add_nc_u64 s[14:15], s[14:15], 1
	s_add_nc_u64 s[12:13], s[12:13], 8
	s_wait_alu 0xfffe
	v_cmp_ge_u64_e64 s2, s[14:15], s[6:7]
	s_add_nc_u64 s[16:17], s[16:17], 8
	s_delay_alu instid0(VALU_DEP_2) | instskip(NEXT) | instid1(VALU_DEP_3)
	v_add3_u32 v2, v12, v6, v2
	v_sub_co_u32 v6, vcc_lo, v7, v11
	s_wait_alu 0xfffd
	s_delay_alu instid0(VALU_DEP_2) | instskip(SKIP_3) | instid1(VALU_DEP_2)
	v_sub_co_ci_u32_e32 v2, vcc_lo, v8, v2, vcc_lo
	s_and_b32 vcc_lo, exec_lo, s2
	s_wait_kmcnt 0x0
	v_mul_lo_u32 v7, s21, v6
	v_mul_lo_u32 v2, s20, v2
	v_mad_co_u64_u32 v[3:4], null, s20, v6, v[3:4]
	s_delay_alu instid0(VALU_DEP_1)
	v_add3_u32 v4, v7, v4, v2
	s_wait_alu 0xfffe
	s_cbranch_vccnz .LBB0_8
; %bb.7:                                ;   in Loop: Header=BB0_2 Depth=1
	v_dual_mov_b32 v7, v9 :: v_dual_mov_b32 v8, v10
	s_branch .LBB0_2
.LBB0_8:
	s_lshl_b64 s[2:3], s[6:7], 3
	v_mul_hi_u32 v2, 0xaaaaaaab, v1
	s_wait_alu 0xfffe
	s_add_nc_u64 s[2:3], s[10:11], s[2:3]
	s_load_b64 s[0:1], s[0:1], 0x20
	s_load_b64 s[2:3], s[2:3], 0x0
	v_mul_hi_u32 v5, 0x6906907, v0
	s_delay_alu instid0(VALU_DEP_2) | instskip(NEXT) | instid1(VALU_DEP_1)
	v_lshrrev_b32_e32 v2, 1, v2
	v_lshl_add_u32 v6, v2, 1, v2
	s_delay_alu instid0(VALU_DEP_1)
	v_sub_nc_u32_e32 v1, v1, v6
	s_wait_kmcnt 0x0
	v_cmp_gt_u64_e32 vcc_lo, s[0:1], v[9:10]
	v_mul_lo_u32 v7, s2, v10
	v_mul_lo_u32 v8, s3, v9
	v_mad_co_u64_u32 v[2:3], null, s2, v9, v[3:4]
	v_mul_u32_u24_e32 v4, 39, v5
	v_mul_u32_u24_e32 v59, 0x223, v1
	v_mov_b32_e32 v5, 0
	s_delay_alu instid0(VALU_DEP_3) | instskip(SKIP_1) | instid1(VALU_DEP_4)
	v_sub_nc_u32_e32 v4, v0, v4
	v_add3_u32 v3, v8, v3, v7
	v_lshlrev_b32_e32 v255, 4, v59
	s_delay_alu instid0(VALU_DEP_3) | instskip(NEXT) | instid1(VALU_DEP_3)
	v_mov_b32_e32 v229, v4
	v_lshlrev_b64_e32 v[0:1], 4, v[2:3]
	scratch_store_b64 off, v[0:1], off offset:88 ; 8-byte Folded Spill
	s_and_saveexec_b32 s1, vcc_lo
	s_cbranch_execz .LBB0_12
; %bb.9:
	scratch_load_b64 v[0:1], off, off offset:88 ; 8-byte Folded Reload
	v_lshlrev_b64_e32 v[2:3], 4, v[4:5]
	s_mov_b32 s2, exec_lo
	s_wait_loadcnt 0x0
	v_add_co_u32 v0, s0, s8, v0
	s_wait_alu 0xf1ff
	v_add_co_ci_u32_e64 v1, s0, s9, v1, s0
	s_delay_alu instid0(VALU_DEP_2) | instskip(SKIP_1) | instid1(VALU_DEP_2)
	v_add_co_u32 v2, s0, v0, v2
	s_wait_alu 0xf1ff
	v_add_co_ci_u32_e64 v3, s0, v1, v3, s0
	s_clause 0xd
	global_load_b128 v[7:10], v[2:3], off
	global_load_b128 v[11:14], v[2:3], off offset:624
	global_load_b128 v[15:18], v[2:3], off offset:1248
	;; [unrolled: 1-line block ×13, first 2 shown]
	v_lshlrev_b32_e32 v2, 4, v4
	s_delay_alu instid0(VALU_DEP_1)
	v_add3_u32 v6, 0, v255, v2
	v_dual_mov_b32 v2, v4 :: v_dual_mov_b32 v3, v5
	s_wait_loadcnt 0xd
	ds_store_b128 v6, v[7:10]
	s_wait_loadcnt 0xc
	ds_store_b128 v6, v[11:14] offset:624
	s_wait_loadcnt 0xb
	ds_store_b128 v6, v[15:18] offset:1248
	;; [unrolled: 2-line block ×13, first 2 shown]
	v_cmpx_eq_u32_e32 38, v4
	s_cbranch_execz .LBB0_11
; %bb.10:
	global_load_b128 v[7:10], v[0:1], off offset:8736
	v_mov_b32_e32 v2, 38
	v_dual_mov_b32 v3, 0 :: v_dual_mov_b32 v4, 38
	s_wait_loadcnt 0x0
	ds_store_b128 v6, v[7:10] offset:8128
.LBB0_11:
	s_wait_alu 0xfffe
	s_or_b32 exec_lo, exec_lo, s2
	v_mov_b32_e32 v229, v4
	v_dual_mov_b32 v5, v3 :: v_dual_mov_b32 v4, v2
.LBB0_12:
	s_wait_alu 0xfffe
	s_or_b32 exec_lo, exec_lo, s1
	v_lshl_add_u32 v1, v59, 4, 0
	v_lshlrev_b32_e32 v0, 4, v229
	scratch_store_b32 off, v59, off offset:96 ; 4-byte Folded Spill
	global_wb scope:SCOPE_SE
	s_wait_storecnt_dscnt 0x0
	v_lshlrev_b64_e32 v[4:5], 4, v[4:5]
	scratch_store_b32 off, v1, off offset:100 ; 4-byte Folded Spill
	v_add_nc_u32_e32 v31, v1, v0
	v_sub_nc_u32_e32 v6, v1, v0
	s_wait_storecnt 0x0
	s_barrier_signal -1
	s_barrier_wait -1
	global_inv scope:SCOPE_SE
	ds_load_b64 v[2:3], v31
	ds_load_b64 v[7:8], v6 offset:8736
	s_mov_b32 s1, exec_lo
	scratch_store_b64 off, v[4:5], off      ; 8-byte Folded Spill
	s_wait_dscnt 0x0
	v_add_f64_e32 v[0:1], v[2:3], v[7:8]
	v_add_f64_e64 v[2:3], v[2:3], -v[7:8]
	v_cmpx_ne_u32_e32 0, v229
	s_wait_alu 0xfffe
	s_xor_b32 s1, exec_lo, s1
	s_cbranch_execz .LBB0_14
; %bb.13:
	scratch_load_b64 v[4:5], off, off       ; 8-byte Folded Reload
	s_wait_loadcnt 0x0
	v_add_co_u32 v4, s0, s4, v4
	s_wait_alu 0xf1ff
	v_add_co_ci_u32_e64 v5, s0, s5, v5, s0
	global_load_b128 v[7:10], v[4:5], off offset:8528
	ds_load_b64 v[4:5], v6 offset:8744
	ds_load_b64 v[11:12], v31 offset:8
	s_wait_dscnt 0x0
	v_add_f64_e32 v[13:14], v[4:5], v[11:12]
	v_add_f64_e64 v[4:5], v[11:12], -v[4:5]
	s_wait_loadcnt 0x0
	v_fma_f64 v[11:12], v[2:3], v[9:10], v[0:1]
	s_delay_alu instid0(VALU_DEP_2) | instskip(SKIP_2) | instid1(VALU_DEP_4)
	v_fma_f64 v[15:16], v[13:14], v[9:10], v[4:5]
	v_fma_f64 v[0:1], -v[2:3], v[9:10], v[0:1]
	v_fma_f64 v[4:5], v[13:14], v[9:10], -v[4:5]
	v_fma_f64 v[9:10], -v[13:14], v[7:8], v[11:12]
	s_delay_alu instid0(VALU_DEP_4) | instskip(NEXT) | instid1(VALU_DEP_4)
	v_fma_f64 v[11:12], v[2:3], v[7:8], v[15:16]
	v_fma_f64 v[0:1], v[13:14], v[7:8], v[0:1]
	s_delay_alu instid0(VALU_DEP_4)
	v_fma_f64 v[2:3], v[2:3], v[7:8], v[4:5]
	ds_store_b128 v31, v[9:12]
	ds_store_b128 v6, v[0:3] offset:8736
                                        ; implicit-def: $vgpr0_vgpr1
.LBB0_14:
	s_wait_alu 0xfffe
	s_and_not1_saveexec_b32 s0, s1
	s_cbranch_execz .LBB0_16
; %bb.15:
	scratch_load_b32 v4, off, off offset:100 ; 4-byte Folded Reload
	ds_store_b128 v31, v[0:3]
	s_wait_loadcnt 0x0
	ds_load_b128 v[0:3], v4 offset:4368
	s_wait_dscnt 0x0
	v_add_f64_e32 v[0:1], v[0:1], v[0:1]
	v_mul_f64_e32 v[2:3], -2.0, v[2:3]
	ds_store_b128 v4, v[0:3] offset:4368
.LBB0_16:
	s_wait_alu 0xfffe
	s_or_b32 exec_lo, exec_lo, s0
	v_mov_b32_e32 v230, 0
	s_add_nc_u64 s[0:1], s[4:5], 0x2150
	s_mov_b32 s12, 0x42a4c3d2
	s_mov_b32 s13, 0xbfea55e2
	;; [unrolled: 1-line block ×3, first 2 shown]
	v_lshlrev_b64_e32 v[0:1], 4, v[229:230]
	s_mov_b32 s17, 0x3fe22d96
	s_mov_b32 s20, 0x66966769
	;; [unrolled: 1-line block ×5, first 2 shown]
	s_wait_alu 0xfffe
	v_add_co_u32 v23, s0, s0, v0
	s_wait_alu 0xf1ff
	v_add_co_ci_u32_e64 v24, s0, s1, v1, s0
	scratch_store_b64 off, v[0:1], off offset:104 ; 8-byte Folded Spill
	s_mov_b32 s18, 0x2ef20147
	s_mov_b32 s19, 0xbfedeba7
	s_clause 0x1
	global_load_b128 v[0:3], v[23:24], off offset:624
	global_load_b128 v[7:10], v[23:24], off offset:1248
	ds_load_b128 v[11:14], v31 offset:624
	ds_load_b128 v[15:18], v6 offset:8112
	global_load_b128 v[19:22], v[23:24], off offset:1872
	s_mov_b32 s22, 0xb2365da1
	s_mov_b32 s23, 0xbfd6b1d8
	s_mov_b32 s10, 0x24c2f84
	s_mov_b32 s11, 0xbfe5384d
	s_mov_b32 s14, 0xd0032e0c
	s_mov_b32 s15, 0xbfe7f3cc
	s_mov_b32 s2, 0x4267c47c
	s_mov_b32 s26, 0x4bc48dbf
	s_mov_b32 s3, 0xbfddbe06
	s_mov_b32 s27, 0xbfcea1e5
	s_mov_b32 s28, 0x93053d00
	s_mov_b32 s29, 0xbfef11f4
	s_mov_b32 s6, 0xe00740e9
	s_mov_b32 s7, 0x3fec55a7
	s_mov_b32 s31, 0x3fe5384d
	s_mov_b32 s30, s10
	s_mov_b32 s37, 0x3fefc445
	s_mov_b32 s36, s20
	s_wait_dscnt 0x0
	v_add_f64_e32 v[4:5], v[11:12], v[15:16]
	v_add_f64_e32 v[25:26], v[17:18], v[13:14]
	v_add_f64_e64 v[15:16], v[11:12], -v[15:16]
	v_add_f64_e64 v[11:12], v[13:14], -v[17:18]
	s_mov_b32 s35, 0x3fddbe06
	s_wait_alu 0xfffe
	s_mov_b32 s34, s2
	s_mov_b32 s39, 0x3fedeba7
	;; [unrolled: 1-line block ×7, first 2 shown]
	s_mov_b32 s1, exec_lo
	s_wait_loadcnt 0x2
	s_delay_alu instid0(VALU_DEP_2) | instskip(NEXT) | instid1(VALU_DEP_2)
	v_fma_f64 v[13:14], v[15:16], v[2:3], v[4:5]
	v_fma_f64 v[17:18], v[25:26], v[2:3], v[11:12]
	v_fma_f64 v[27:28], -v[15:16], v[2:3], v[4:5]
	v_fma_f64 v[29:30], v[25:26], v[2:3], -v[11:12]
	s_delay_alu instid0(VALU_DEP_4) | instskip(NEXT) | instid1(VALU_DEP_4)
	v_fma_f64 v[2:3], -v[25:26], v[0:1], v[13:14]
	v_fma_f64 v[4:5], v[15:16], v[0:1], v[17:18]
	s_delay_alu instid0(VALU_DEP_4) | instskip(NEXT) | instid1(VALU_DEP_4)
	v_fma_f64 v[11:12], v[25:26], v[0:1], v[27:28]
	v_fma_f64 v[13:14], v[15:16], v[0:1], v[29:30]
	ds_store_b128 v31, v[2:5] offset:624
	ds_store_b128 v6, v[11:14] offset:8112
	ds_load_b128 v[0:3], v31 offset:1248
	ds_load_b128 v[11:14], v6 offset:7488
	global_load_b128 v[15:18], v[23:24], off offset:2496
	s_wait_dscnt 0x0
	v_add_f64_e32 v[4:5], v[0:1], v[11:12]
	v_add_f64_e32 v[25:26], v[13:14], v[2:3]
	v_add_f64_e64 v[11:12], v[0:1], -v[11:12]
	v_add_f64_e64 v[0:1], v[2:3], -v[13:14]
	s_wait_loadcnt 0x2
	s_delay_alu instid0(VALU_DEP_2) | instskip(NEXT) | instid1(VALU_DEP_2)
	v_fma_f64 v[2:3], v[11:12], v[9:10], v[4:5]
	v_fma_f64 v[13:14], v[25:26], v[9:10], v[0:1]
	v_fma_f64 v[4:5], -v[11:12], v[9:10], v[4:5]
	v_fma_f64 v[27:28], v[25:26], v[9:10], -v[0:1]
	s_delay_alu instid0(VALU_DEP_4) | instskip(NEXT) | instid1(VALU_DEP_4)
	v_fma_f64 v[0:1], -v[25:26], v[7:8], v[2:3]
	v_fma_f64 v[2:3], v[11:12], v[7:8], v[13:14]
	s_delay_alu instid0(VALU_DEP_4) | instskip(NEXT) | instid1(VALU_DEP_4)
	v_fma_f64 v[9:10], v[25:26], v[7:8], v[4:5]
	v_fma_f64 v[11:12], v[11:12], v[7:8], v[27:28]
	ds_store_b128 v31, v[0:3] offset:1248
	ds_store_b128 v6, v[9:12] offset:7488
	ds_load_b128 v[0:3], v31 offset:1872
	ds_load_b128 v[7:10], v6 offset:6864
	global_load_b128 v[11:14], v[23:24], off offset:3120
	s_wait_dscnt 0x0
	v_add_f64_e32 v[4:5], v[0:1], v[7:8]
	v_add_f64_e32 v[25:26], v[9:10], v[2:3]
	v_add_f64_e64 v[27:28], v[0:1], -v[7:8]
	v_add_f64_e64 v[0:1], v[2:3], -v[9:10]
	;; [unrolled: 22-line block ×3, first 2 shown]
	s_wait_loadcnt 0x2
	s_delay_alu instid0(VALU_DEP_2) | instskip(NEXT) | instid1(VALU_DEP_2)
	v_fma_f64 v[2:3], v[25:26], v[17:18], v[4:5]
	v_fma_f64 v[7:8], v[23:24], v[17:18], v[0:1]
	v_fma_f64 v[4:5], -v[25:26], v[17:18], v[4:5]
	v_fma_f64 v[9:10], v[23:24], v[17:18], -v[0:1]
	s_delay_alu instid0(VALU_DEP_4) | instskip(NEXT) | instid1(VALU_DEP_4)
	v_fma_f64 v[0:1], -v[23:24], v[15:16], v[2:3]
	v_fma_f64 v[2:3], v[25:26], v[15:16], v[7:8]
	s_delay_alu instid0(VALU_DEP_4) | instskip(NEXT) | instid1(VALU_DEP_4)
	v_fma_f64 v[7:8], v[23:24], v[15:16], v[4:5]
	v_fma_f64 v[9:10], v[25:26], v[15:16], v[9:10]
	ds_store_b128 v31, v[0:3] offset:2496
	ds_store_b128 v6, v[7:10] offset:6240
	ds_load_b128 v[0:3], v31 offset:3120
	ds_load_b128 v[7:10], v6 offset:5616
	s_wait_dscnt 0x0
	v_add_f64_e32 v[4:5], v[0:1], v[7:8]
	v_add_f64_e32 v[15:16], v[9:10], v[2:3]
	v_add_f64_e64 v[17:18], v[0:1], -v[7:8]
	v_add_f64_e64 v[0:1], v[2:3], -v[9:10]
	s_wait_loadcnt 0x1
	s_delay_alu instid0(VALU_DEP_2) | instskip(NEXT) | instid1(VALU_DEP_2)
	v_fma_f64 v[2:3], v[17:18], v[13:14], v[4:5]
	v_fma_f64 v[7:8], v[15:16], v[13:14], v[0:1]
	v_fma_f64 v[4:5], -v[17:18], v[13:14], v[4:5]
	v_fma_f64 v[9:10], v[15:16], v[13:14], -v[0:1]
	s_delay_alu instid0(VALU_DEP_4) | instskip(NEXT) | instid1(VALU_DEP_4)
	v_fma_f64 v[0:1], -v[15:16], v[11:12], v[2:3]
	v_fma_f64 v[2:3], v[17:18], v[11:12], v[7:8]
	s_delay_alu instid0(VALU_DEP_4) | instskip(NEXT) | instid1(VALU_DEP_4)
	v_fma_f64 v[7:8], v[15:16], v[11:12], v[4:5]
	v_fma_f64 v[9:10], v[17:18], v[11:12], v[9:10]
	ds_store_b128 v31, v[0:3] offset:3120
	ds_store_b128 v6, v[7:10] offset:5616
	ds_load_b128 v[0:3], v31 offset:3744
	ds_load_b128 v[7:10], v6 offset:4992
	s_wait_dscnt 0x0
	v_add_f64_e32 v[4:5], v[0:1], v[7:8]
	v_add_f64_e32 v[11:12], v[9:10], v[2:3]
	v_add_f64_e64 v[13:14], v[0:1], -v[7:8]
	v_add_f64_e64 v[0:1], v[2:3], -v[9:10]
	s_wait_loadcnt 0x0
	s_delay_alu instid0(VALU_DEP_2) | instskip(NEXT) | instid1(VALU_DEP_2)
	v_fma_f64 v[2:3], v[13:14], v[21:22], v[4:5]
	v_fma_f64 v[7:8], v[11:12], v[21:22], v[0:1]
	v_fma_f64 v[4:5], -v[13:14], v[21:22], v[4:5]
	v_fma_f64 v[9:10], v[11:12], v[21:22], -v[0:1]
	s_delay_alu instid0(VALU_DEP_4) | instskip(NEXT) | instid1(VALU_DEP_4)
	v_fma_f64 v[0:1], -v[11:12], v[19:20], v[2:3]
	v_fma_f64 v[2:3], v[13:14], v[19:20], v[7:8]
	s_delay_alu instid0(VALU_DEP_4) | instskip(NEXT) | instid1(VALU_DEP_4)
	v_fma_f64 v[7:8], v[11:12], v[19:20], v[4:5]
	v_fma_f64 v[9:10], v[13:14], v[19:20], v[9:10]
	v_lshl_add_u32 v4, v229, 4, 0
	ds_store_b128 v31, v[0:3] offset:3744
	ds_store_b128 v6, v[7:10] offset:4992
	v_add_nc_u32_e32 v230, v4, v255
	global_wb scope:SCOPE_SE
	s_wait_storecnt_dscnt 0x0
	s_barrier_signal -1
	s_barrier_wait -1
	global_inv scope:SCOPE_SE
	global_wb scope:SCOPE_SE
	s_barrier_signal -1
	s_barrier_wait -1
	global_inv scope:SCOPE_SE
	scratch_store_b32 off, v31, off offset:112 ; 4-byte Folded Spill
	ds_load_b128 v[8:11], v230 offset:672
	ds_load_b128 v[4:7], v31
	ds_load_b128 v[0:3], v230 offset:624
	ds_load_b128 v[12:15], v230 offset:1296
	s_wait_dscnt 0x2
	v_add_f64_e32 v[16:17], v[4:5], v[8:9]
	v_add_f64_e32 v[18:19], v[6:7], v[10:11]
	s_wait_dscnt 0x0
	v_add_f64_e32 v[20:21], v[0:1], v[12:13]
	v_add_f64_e32 v[22:23], v[2:3], v[14:15]
	scratch_store_b128 off, v[0:3], off offset:8 ; 16-byte Folded Spill
	ds_load_b128 v[32:35], v230 offset:1344
	ds_load_b128 v[82:85], v230 offset:1968
	;; [unrolled: 1-line block ×19, first 2 shown]
	s_wait_dscnt 0x6
	v_add_f64_e32 v[141:142], v[74:75], v[94:95]
	s_wait_dscnt 0x5
	v_add_f64_e32 v[0:1], v[78:79], v[98:99]
	v_add_f64_e64 v[131:132], v[10:11], -v[181:182]
	v_add_f64_e64 v[135:136], v[8:9], -v[179:180]
	v_add_f64_e32 v[8:9], v[8:9], v[179:180]
	v_add_f64_e32 v[10:11], v[10:11], v[181:182]
	v_add_f64_e64 v[143:144], v[74:75], -v[94:95]
	v_add_f64_e32 v[129:130], v[54:55], v[90:91]
	v_add_f64_e32 v[16:17], v[16:17], v[32:33]
	;; [unrolled: 1-line block ×5, first 2 shown]
	v_add_f64_e64 v[137:138], v[54:55], -v[90:91]
	v_add_f64_e32 v[88:89], v[76:77], v[96:97]
	v_add_f64_e64 v[145:146], v[76:77], -v[96:97]
	v_add_f64_e32 v[133:134], v[56:57], v[92:93]
	v_add_f64_e64 v[139:140], v[56:57], -v[92:93]
	s_wait_dscnt 0x1
	v_add_f64_e64 v[161:162], v[38:39], -v[116:117]
	v_add_f64_e32 v[155:156], v[36:37], v[114:115]
	v_add_f64_e64 v[153:154], v[42:43], -v[108:109]
	v_add_f64_e32 v[147:148], v[40:41], v[106:107]
	;; [unrolled: 2-line block ×3, first 2 shown]
	v_add_f64_e32 v[149:150], v[42:43], v[108:109]
	v_add_f64_e64 v[151:152], v[40:41], -v[106:107]
	v_mul_f64_e32 v[173:174], s[12:13], v[131:132]
	v_mul_f64_e32 v[175:176], s[12:13], v[135:136]
	;; [unrolled: 1-line block ×6, first 2 shown]
	v_add_f64_e32 v[16:17], v[16:17], v[36:37]
	v_add_f64_e32 v[18:19], v[18:19], v[38:39]
	;; [unrolled: 1-line block ×4, first 2 shown]
	v_mul_f64_e32 v[187:188], s[10:11], v[135:136]
	v_mul_f64_e32 v[171:172], s[2:3], v[135:136]
	;; [unrolled: 1-line block ×13, first 2 shown]
	v_fma_f64 v[199:200], v[8:9], s[16:17], -v[173:174]
	v_fma_f64 v[201:202], v[10:11], s[16:17], v[175:176]
	v_fma_f64 v[173:174], v[8:9], s[16:17], v[173:174]
	v_fma_f64 v[175:176], v[10:11], s[16:17], -v[175:176]
	v_fma_f64 v[203:204], v[8:9], s[24:25], -v[177:178]
	;; [unrolled: 1-line block ×3, first 2 shown]
	v_add_f64_e32 v[16:17], v[16:17], v[40:41]
	v_add_f64_e32 v[18:19], v[18:19], v[42:43]
	;; [unrolled: 1-line block ×4, first 2 shown]
	v_fma_f64 v[209:210], v[10:11], s[22:23], v[183:184]
	v_fma_f64 v[2:3], v[8:9], s[22:23], v[2:3]
	v_fma_f64 v[183:184], v[10:11], s[22:23], -v[183:184]
	v_fma_f64 v[211:212], v[8:9], s[14:15], -v[185:186]
	v_fma_f64 v[185:186], v[8:9], s[14:15], v[185:186]
	v_fma_f64 v[213:214], v[10:11], s[14:15], v[187:188]
	v_fma_f64 v[187:188], v[10:11], s[14:15], -v[187:188]
	v_fma_f64 v[177:178], v[8:9], s[24:25], v[177:178]
	v_fma_f64 v[197:198], v[10:11], s[6:7], v[171:172]
	v_fma_f64 v[171:172], v[10:11], s[6:7], -v[171:172]
	v_mul_f64_e32 v[40:41], s[42:43], v[153:154]
	v_add_f64_e32 v[24:25], v[16:17], v[54:55]
	v_add_f64_e32 v[26:27], v[18:19], v[56:57]
	v_add_f64_e32 v[20:21], v[20:21], v[70:71]
	v_add_f64_e32 v[22:23], v[22:23], v[72:73]
	v_add_f64_e32 v[18:19], v[4:5], v[199:200]
	v_add_f64_e32 v[213:214], v[6:7], v[213:214]
	v_add_f64_e32 v[237:238], v[6:7], v[197:198]
	v_add_f64_e32 v[251:252], v[6:7], v[171:172]
	v_add_f64_e32 v[44:45], v[24:25], v[74:75]
	v_add_f64_e32 v[58:59], v[26:27], v[76:77]
	v_add_f64_e32 v[86:87], v[20:21], v[78:79]
	v_add_f64_e32 v[127:128], v[22:23], v[80:81]
	ds_load_b128 v[28:31], v230 offset:7392
	ds_load_b128 v[24:27], v230 offset:8016
	;; [unrolled: 1-line block ×3, first 2 shown]
	scratch_store_b64 off, v[0:1], off offset:148 ; 8-byte Folded Spill
	v_add_f64_e32 v[0:1], v[80:81], v[100:101]
	scratch_store_b64 off, v[18:19], off offset:276 ; 8-byte Folded Spill
	v_add_f64_e32 v[18:19], v[6:7], v[201:202]
	v_fma_f64 v[201:202], v[147:148], s[28:29], v[40:41]
	s_wait_dscnt 0x2
	v_add_f64_e64 v[169:170], v[34:35], -v[30:31]
	s_wait_dscnt 0x1
	v_add_f64_e32 v[16:17], v[82:83], v[24:25]
	v_add_f64_e32 v[163:164], v[32:33], v[28:29]
	v_add_f64_e64 v[167:168], v[32:33], -v[28:29]
	v_add_f64_e32 v[165:166], v[34:35], v[30:31]
	v_add_f64_e32 v[94:95], v[44:45], v[94:95]
	;; [unrolled: 1-line block ×3, first 2 shown]
	scratch_store_b64 off, v[0:1], off offset:156 ; 8-byte Folded Spill
	v_add_f64_e64 v[0:1], v[78:79], -v[98:99]
	v_add_f64_e32 v[98:99], v[86:87], v[98:99]
	v_mul_f64_e32 v[78:79], s[30:31], v[151:152]
	scratch_store_b64 off, v[18:19], off offset:284 ; 8-byte Folded Spill
	v_add_f64_e32 v[18:19], v[4:5], v[173:174]
	v_fma_f64 v[173:174], v[147:148], s[6:7], -v[66:67]
	v_mul_f64_e32 v[189:190], s[26:27], v[169:170]
	scratch_store_b64 off, v[16:17], off offset:24 ; 8-byte Folded Spill
	v_add_f64_e32 v[16:17], v[84:85], v[26:27]
	v_mul_f64_e32 v[191:192], s[26:27], v[167:168]
	v_mul_f64_e32 v[193:194], s[36:37], v[169:170]
	v_add_f64_e32 v[90:91], v[94:95], v[90:91]
	v_add_f64_e32 v[92:93], v[96:97], v[92:93]
	v_mul_f64_e32 v[94:95], s[18:19], v[169:170]
	v_mul_f64_e32 v[96:97], s[18:19], v[167:168]
	scratch_store_b64 off, v[0:1], off offset:204 ; 8-byte Folded Spill
	v_add_f64_e64 v[0:1], v[80:81], -v[100:101]
	v_add_f64_e32 v[100:101], v[127:128], v[100:101]
	v_mul_f64_e32 v[127:128], s[2:3], v[131:132]
	v_mul_f64_e32 v[131:132], s[26:27], v[131:132]
	v_add_f64_e32 v[98:99], v[98:99], v[102:103]
	v_mul_f64_e32 v[80:81], s[34:35], v[151:152]
	v_fma_f64 v[54:55], v[149:150], s[14:15], v[78:79]
	v_fma_f64 v[78:79], v[149:150], s[14:15], -v[78:79]
	scratch_store_b64 off, v[18:19], off offset:292 ; 8-byte Folded Spill
	v_add_f64_e32 v[18:19], v[6:7], v[175:176]
	scratch_store_b64 off, v[16:17], off offset:56 ; 8-byte Folded Spill
	v_add_f64_e64 v[16:17], v[82:83], -v[24:25]
	v_mul_f64_e32 v[82:83], s[20:21], v[151:152]
	v_add_f64_e32 v[90:91], v[90:91], v[106:107]
	v_add_f64_e32 v[92:93], v[92:93], v[108:109]
	v_fma_f64 v[63:64], v[163:164], s[22:23], -v[94:95]
	v_fma_f64 v[227:228], v[165:166], s[22:23], v[96:97]
	v_fma_f64 v[235:236], v[165:166], s[22:23], -v[96:97]
	v_fma_f64 v[231:232], v[163:164], s[22:23], v[94:95]
	v_fma_f64 v[108:109], v[157:158], s[22:23], v[241:242]
	v_fma_f64 v[241:242], v[157:158], s[22:23], -v[241:242]
	scratch_store_b64 off, v[0:1], off offset:172 ; 8-byte Folded Spill
	v_add_f64_e32 v[0:1], v[70:71], v[102:103]
	v_fma_f64 v[195:196], v[8:9], s[6:7], -v[127:128]
	v_fma_f64 v[215:216], v[8:9], s[28:29], -v[131:132]
	v_fma_f64 v[127:128], v[8:9], s[6:7], v[127:128]
	v_fma_f64 v[8:9], v[8:9], s[28:29], v[131:132]
	v_add_f64_e32 v[100:101], v[100:101], v[104:105]
	v_add_f64_e32 v[98:99], v[98:99], v[110:111]
	v_fma_f64 v[249:250], v[149:150], s[6:7], v[80:81]
	v_fma_f64 v[80:81], v[149:150], s[6:7], -v[80:81]
	scratch_store_b64 off, v[18:19], off offset:300 ; 8-byte Folded Spill
	v_add_f64_e32 v[18:19], v[4:5], v[203:204]
	scratch_store_b64 off, v[16:17], off offset:32 ; 8-byte Folded Spill
	v_add_f64_e64 v[16:17], v[84:85], -v[26:27]
	v_mul_f64_e32 v[84:85], s[42:43], v[151:152]
	scratch_store_b64 off, v[0:1], off offset:180 ; 8-byte Folded Spill
	v_add_f64_e32 v[0:1], v[72:73], v[104:105]
	v_add_f64_e32 v[233:234], v[4:5], v[195:196]
	;; [unrolled: 1-line block ×3, first 2 shown]
	v_fma_f64 v[127:128], v[157:158], s[16:17], v[245:246]
	v_add_f64_e32 v[100:101], v[100:101], v[112:113]
	v_fma_f64 v[245:246], v[157:158], s[16:17], -v[245:246]
	v_fma_f64 v[195:196], v[147:148], s[28:29], -v[40:41]
	scratch_store_b64 off, v[16:17], off offset:64 ; 8-byte Folded Spill
	s_wait_dscnt 0x0
	v_add_f64_e32 v[16:17], v[12:13], v[20:21]
	v_add_f64_e64 v[12:13], v[12:13], -v[20:21]
	v_fma_f64 v[76:77], v[149:150], s[28:29], v[84:85]
	v_fma_f64 v[84:85], v[149:150], s[28:29], -v[84:85]
	scratch_store_b64 off, v[0:1], off offset:116 ; 8-byte Folded Spill
	v_add_f64_e64 v[0:1], v[70:71], -v[102:103]
	v_mul_f64_e32 v[102:103], s[30:31], v[169:170]
	v_fma_f64 v[70:71], v[149:150], s[24:25], v[82:83]
	v_fma_f64 v[82:83], v[149:150], s[24:25], -v[82:83]
	s_clause 0x1
	scratch_store_b64 off, v[16:17], off offset:40
	scratch_store_b64 off, v[12:13], off offset:48
	v_add_f64_e32 v[16:17], v[14:15], v[22:23]
	v_add_f64_e64 v[12:13], v[14:15], -v[22:23]
	v_mul_f64_e32 v[14:15], s[12:13], v[167:168]
	scratch_store_b64 off, v[0:1], off offset:188 ; 8-byte Folded Spill
	v_add_f64_e64 v[0:1], v[72:73], -v[104:105]
	v_mul_f64_e32 v[104:105], s[30:31], v[167:168]
	s_clause 0x1
	scratch_store_b64 off, v[16:17], off offset:80
	scratch_store_b64 off, v[12:13], off offset:72
	v_mul_f64_e32 v[12:13], s[12:13], v[169:170]
	v_mul_f64_e32 v[169:170], s[34:35], v[169:170]
	v_fma_f64 v[61:62], v[165:166], s[16:17], v[14:15]
	v_fma_f64 v[14:15], v[165:166], s[16:17], -v[14:15]
	scratch_store_b64 off, v[0:1], off offset:140 ; 8-byte Folded Spill
	v_add_f64_e32 v[0:1], v[46:47], v[110:111]
	v_fma_f64 v[16:17], v[163:164], s[16:17], -v[12:13]
	v_fma_f64 v[12:13], v[163:164], s[16:17], v[12:13]
	scratch_store_b64 off, v[0:1], off offset:164 ; 8-byte Folded Spill
	v_add_f64_e32 v[0:1], v[48:49], v[112:113]
	scratch_store_b64 off, v[0:1], off offset:124 ; 8-byte Folded Spill
	v_add_f64_e64 v[0:1], v[46:47], -v[110:111]
	v_mul_f64_e32 v[46:47], s[36:37], v[139:140]
	scratch_store_b64 off, v[0:1], off offset:212 ; 8-byte Folded Spill
	v_add_f64_e64 v[0:1], v[48:49], -v[112:113]
	v_mul_f64_e32 v[48:49], s[12:13], v[139:140]
	scratch_store_b64 off, v[0:1], off offset:132 ; 8-byte Folded Spill
	v_add_f64_e32 v[0:1], v[50:51], v[123:124]
	v_fma_f64 v[106:107], v[129:130], s[16:17], v[48:49]
	scratch_store_b64 off, v[0:1], off offset:228 ; 8-byte Folded Spill
	v_add_f64_e32 v[0:1], v[52:53], v[125:126]
	scratch_store_b64 off, v[0:1], off offset:196 ; 8-byte Folded Spill
	v_add_f64_e64 v[0:1], v[50:51], -v[123:124]
	v_mul_f64_e32 v[50:51], s[42:43], v[139:140]
	scratch_store_b64 off, v[0:1], off offset:220 ; 8-byte Folded Spill
	v_add_f64_e64 v[0:1], v[52:53], -v[125:126]
	v_mul_f64_e32 v[52:53], s[34:35], v[139:140]
	v_fma_f64 v[110:111], v[129:130], s[28:29], -v[50:51]
	scratch_store_b64 off, v[0:1], off offset:236 ; 8-byte Folded Spill
	v_mul_f64_e32 v[0:1], s[20:21], v[135:136]
	v_mul_f64_e32 v[135:136], s[26:27], v[135:136]
	s_delay_alu instid0(VALU_DEP_2) | instskip(SKIP_1) | instid1(VALU_DEP_3)
	v_fma_f64 v[205:206], v[10:11], s[24:25], v[0:1]
	v_fma_f64 v[0:1], v[10:11], s[24:25], -v[0:1]
	v_fma_f64 v[131:132], v[10:11], s[28:29], v[135:136]
	v_fma_f64 v[10:11], v[10:11], s[28:29], -v[135:136]
	v_mul_f64_e32 v[135:136], s[36:37], v[167:168]
	v_mul_f64_e32 v[167:168], s[34:35], v[167:168]
	v_add_f64_e32 v[0:1], v[6:7], v[0:1]
	scratch_store_b64 off, v[18:19], off offset:308 ; 8-byte Folded Spill
	v_add_f64_e32 v[18:19], v[6:7], v[205:206]
	v_fma_f64 v[217:218], v[165:166], s[6:7], v[167:168]
	scratch_store_b64 off, v[0:1], off offset:332 ; 8-byte Folded Spill
	v_add_f64_e32 v[0:1], v[4:5], v[207:208]
	v_fma_f64 v[207:208], v[155:156], s[28:29], -v[219:220]
	scratch_store_b64 off, v[0:1], off offset:340 ; 8-byte Folded Spill
	v_add_f64_e32 v[0:1], v[6:7], v[209:210]
	v_fma_f64 v[209:210], v[155:156], s[28:29], v[219:220]
	scratch_store_b64 off, v[0:1], off offset:348 ; 8-byte Folded Spill
	v_add_f64_e32 v[0:1], v[4:5], v[2:3]
	v_mul_f64_e32 v[2:3], s[12:13], v[137:138]
	scratch_store_b64 off, v[0:1], off offset:356 ; 8-byte Folded Spill
	v_add_f64_e32 v[0:1], v[6:7], v[183:184]
	v_fma_f64 v[183:184], v[147:148], s[6:7], v[66:67]
	v_fma_f64 v[38:39], v[133:134], s[16:17], v[2:3]
	v_fma_f64 v[40:41], v[133:134], s[16:17], -v[2:3]
	v_mul_f64_e32 v[2:3], s[10:11], v[145:146]
	scratch_store_b64 off, v[0:1], off offset:364 ; 8-byte Folded Spill
	v_add_f64_e32 v[0:1], v[4:5], v[211:212]
	v_fma_f64 v[211:212], v[155:156], s[22:23], -v[221:222]
	scratch_store_b64 off, v[0:1], off offset:372 ; 8-byte Folded Spill
	v_add_f64_e32 v[0:1], v[4:5], v[185:186]
	scratch_store_b64 off, v[0:1], off offset:380 ; 8-byte Folded Spill
	v_add_f64_e32 v[0:1], v[6:7], v[187:188]
	v_fma_f64 v[187:188], v[147:148], s[24:25], -v[121:122]
	scratch_store_b64 off, v[0:1], off offset:388 ; 8-byte Folded Spill
	v_add_f64_e32 v[0:1], v[4:5], v[215:216]
	v_fma_f64 v[215:216], v[163:164], s[24:25], -v[193:194]
	;; [unrolled: 3-line block ×3, first 2 shown]
	scratch_store_b64 off, v[0:1], off offset:404 ; 8-byte Folded Spill
	v_add_f64_e32 v[0:1], v[4:5], v[8:9]
	scratch_store_b64 off, v[0:1], off offset:412 ; 8-byte Folded Spill
	v_add_f64_e32 v[0:1], v[6:7], v[10:11]
	v_mul_f64_e32 v[6:7], s[34:35], v[137:138]
	scratch_store_b64 off, v[0:1], off offset:420 ; 8-byte Folded Spill
	v_fma_f64 v[0:1], v[163:164], s[28:29], -v[189:190]
	scratch_store_b64 off, v[0:1], off offset:428 ; 8-byte Folded Spill
	v_fma_f64 v[0:1], v[165:166], s[28:29], v[191:192]
	scratch_store_b64 off, v[0:1], off offset:436 ; 8-byte Folded Spill
	v_fma_f64 v[0:1], v[163:164], s[28:29], v[189:190]
	scratch_store_b64 off, v[0:1], off offset:444 ; 8-byte Folded Spill
	v_fma_f64 v[0:1], v[165:166], s[28:29], -v[191:192]
	scratch_store_b64 off, v[0:1], off offset:452 ; 8-byte Folded Spill
	v_add_f64_e32 v[0:1], v[90:91], v[114:115]
	scratch_store_b64 off, v[18:19], off offset:316 ; 8-byte Folded Spill
	v_add_f64_e32 v[18:19], v[4:5], v[177:178]
	v_fma_f64 v[177:178], v[163:164], s[6:7], v[169:170]
	v_fma_f64 v[114:115], v[157:158], s[6:7], v[243:244]
	v_fma_f64 v[243:244], v[157:158], s[6:7], -v[243:244]
	v_mul_f64_e32 v[4:5], s[42:43], v[137:138]
	scratch_store_b64 off, v[0:1], off offset:244 ; 8-byte Folded Spill
	v_add_f64_e32 v[0:1], v[92:93], v[116:117]
	scratch_store_b64 off, v[18:19], off offset:324 ; 8-byte Folded Spill
	v_fma_f64 v[116:117], v[129:130], s[28:29], v[50:51]
	v_fma_f64 v[50:51], v[133:134], s[6:7], v[6:7]
	;; [unrolled: 1-line block ×3, first 2 shown]
	scratch_store_b64 off, v[0:1], off offset:252 ; 8-byte Folded Spill
	v_fma_f64 v[0:1], v[163:164], s[14:15], -v[102:103]
	scratch_store_b64 off, v[0:1], off offset:460 ; 8-byte Folded Spill
	v_fma_f64 v[0:1], v[165:166], s[14:15], v[104:105]
	scratch_store_b64 off, v[0:1], off offset:468 ; 8-byte Folded Spill
	v_fma_f64 v[0:1], v[163:164], s[14:15], v[102:103]
	v_fma_f64 v[102:103], v[129:130], s[24:25], v[46:47]
	scratch_store_b64 off, v[0:1], off offset:476 ; 8-byte Folded Spill
	v_fma_f64 v[0:1], v[165:166], s[14:15], -v[104:105]
	v_fma_f64 v[104:105], v[129:130], s[16:17], -v[48:49]
	scratch_store_b64 off, v[0:1], off offset:484 ; 8-byte Folded Spill
	v_add_f64_e32 v[0:1], v[98:99], v[123:124]
	v_fma_f64 v[98:99], v[129:130], s[24:25], -v[46:47]
	v_fma_f64 v[46:47], v[133:134], s[28:29], -v[4:5]
	v_mul_f64_e32 v[4:5], s[40:41], v[145:146]
	scratch_store_b64 off, v[0:1], off offset:260 ; 8-byte Folded Spill
	v_add_f64_e32 v[0:1], v[100:101], v[125:126]
	v_fma_f64 v[100:101], v[157:158], s[28:29], v[239:240]
	v_fma_f64 v[239:240], v[157:158], s[28:29], -v[239:240]
	v_fma_f64 v[171:172], v[141:142], s[16:17], -v[4:5]
	v_fma_f64 v[18:19], v[141:142], s[16:17], v[4:5]
	v_mul_f64_e32 v[4:5], s[18:19], v[143:144]
	scratch_store_b64 off, v[0:1], off offset:268 ; 8-byte Folded Spill
	v_fma_f64 v[0:1], v[163:164], s[24:25], v[193:194]
	v_fma_f64 v[193:194], v[147:148], s[24:25], v[121:122]
	v_fma_f64 v[120:121], v[129:130], s[6:7], -v[52:53]
	v_fma_f64 v[68:69], v[88:89], s[22:23], v[4:5]
	v_fma_f64 v[92:93], v[88:89], s[22:23], -v[4:5]
	v_add_f64_e32 v[4:5], v[14:15], v[251:252]
	scratch_store_b64 off, v[0:1], off offset:500 ; 8-byte Folded Spill
	v_fma_f64 v[0:1], v[163:164], s[6:7], -v[169:170]
	v_fma_f64 v[169:170], v[165:166], s[24:25], v[135:136]
	v_fma_f64 v[135:136], v[165:166], s[24:25], -v[135:136]
	v_fma_f64 v[165:166], v[165:166], s[6:7], -v[167:168]
	v_mul_f64_e32 v[167:168], s[20:21], v[161:162]
	v_mul_f64_e32 v[161:162], s[10:11], v[161:162]
	scratch_store_b64 off, v[0:1], off offset:492 ; 8-byte Folded Spill
	v_fma_f64 v[0:1], v[155:156], s[22:23], v[221:222]
	v_add_f64_e32 v[169:170], v[169:170], v[213:214]
	v_fma_f64 v[203:204], v[155:156], s[24:25], -v[167:168]
	v_fma_f64 v[205:206], v[155:156], s[24:25], v[167:168]
	v_fma_f64 v[167:168], v[141:142], s[14:15], v[2:3]
	scratch_store_b64 off, v[0:1], off offset:556 ; 8-byte Folded Spill
	v_fma_f64 v[0:1], v[155:156], s[6:7], -v[223:224]
	v_add_f64_e32 v[127:128], v[127:128], v[169:170]
	scratch_store_b64 off, v[0:1], off offset:548 ; 8-byte Folded Spill
	v_fma_f64 v[0:1], v[155:156], s[6:7], v[223:224]
	v_add_f64_e32 v[76:77], v[76:77], v[127:128]
	scratch_store_b64 off, v[0:1], off offset:540 ; 8-byte Folded Spill
	v_fma_f64 v[0:1], v[155:156], s[16:17], -v[225:226]
	v_add_f64_e32 v[50:51], v[50:51], v[76:77]
	scratch_store_b64 off, v[0:1], off offset:532 ; 8-byte Folded Spill
	v_fma_f64 v[0:1], v[155:156], s[16:17], v[225:226]
	scratch_store_b64 off, v[0:1], off offset:524 ; 8-byte Folded Spill
	v_fma_f64 v[0:1], v[155:156], s[14:15], -v[161:162]
	scratch_store_b64 off, v[0:1], off offset:516 ; 8-byte Folded Spill
	v_fma_f64 v[0:1], v[155:156], s[14:15], v[161:162]
	v_fma_f64 v[155:156], v[147:148], s[14:15], v[118:119]
	v_mul_f64_e32 v[161:162], s[20:21], v[159:160]
	v_mul_f64_e32 v[159:160], s[10:11], v[159:160]
	scratch_store_b64 off, v[0:1], off offset:508 ; 8-byte Folded Spill
	v_mul_f64_e32 v[0:1], s[36:37], v[137:138]
	v_fma_f64 v[253:254], v[157:158], s[24:25], v[161:162]
	v_fma_f64 v[161:162], v[157:158], s[24:25], -v[161:162]
	v_fma_f64 v[163:164], v[157:158], s[14:15], v[159:160]
	v_fma_f64 v[157:158], v[157:158], s[14:15], -v[159:160]
	v_mul_f64_e32 v[159:160], s[18:19], v[153:154]
	v_mul_f64_e32 v[153:154], s[40:41], v[153:154]
	v_fma_f64 v[34:35], v[133:134], s[24:25], v[0:1]
	v_fma_f64 v[36:37], v[133:134], s[24:25], -v[0:1]
	v_mul_f64_e32 v[0:1], s[34:35], v[145:146]
	v_add_f64_e32 v[4:5], v[161:162], v[4:5]
	v_fma_f64 v[123:124], v[147:148], s[22:23], -v[159:160]
	v_fma_f64 v[159:160], v[147:148], s[22:23], v[159:160]
	v_fma_f64 v[219:220], v[147:148], s[16:17], -v[153:154]
	v_fma_f64 v[221:222], v[147:148], s[16:17], v[153:154]
	v_fma_f64 v[147:148], v[129:130], s[6:7], v[52:53]
	v_fma_f64 v[52:53], v[133:134], s[6:7], -v[6:7]
	v_mul_f64_e32 v[6:7], s[18:19], v[145:146]
	v_mul_f64_e32 v[153:154], s[18:19], v[151:152]
	v_mul_f64_e32 v[151:152], s[40:41], v[151:152]
	v_fma_f64 v[118:119], v[141:142], s[6:7], -v[0:1]
	v_fma_f64 v[125:126], v[141:142], s[6:7], v[0:1]
	v_mul_f64_e32 v[0:1], s[10:11], v[143:144]
	v_fma_f64 v[185:186], v[141:142], s[22:23], -v[6:7]
	v_fma_f64 v[189:190], v[141:142], s[22:23], v[6:7]
	v_fma_f64 v[86:87], v[149:150], s[22:23], v[153:154]
	v_fma_f64 v[153:154], v[149:150], s[22:23], -v[153:154]
	v_fma_f64 v[90:91], v[149:150], s[16:17], v[151:152]
	v_fma_f64 v[149:150], v[149:150], s[16:17], -v[151:152]
	v_mul_f64_e32 v[151:152], s[10:11], v[139:140]
	v_mul_f64_e32 v[139:140], s[18:19], v[139:140]
	v_fma_f64 v[56:57], v[88:89], s[14:15], v[0:1]
	v_fma_f64 v[58:59], v[88:89], s[14:15], -v[0:1]
	scratch_load_b64 v[0:1], off, off offset:276 th:TH_LOAD_LU ; 8-byte Folded Reload
	v_add_f64_e32 v[4:5], v[153:154], v[4:5]
	v_fma_f64 v[94:95], v[129:130], s[14:15], -v[151:152]
	v_fma_f64 v[197:198], v[129:130], s[22:23], -v[139:140]
	v_fma_f64 v[199:200], v[129:130], s[22:23], v[139:140]
	v_mul_f64_e32 v[139:140], s[10:11], v[137:138]
	v_mul_f64_e32 v[137:138], s[18:19], v[137:138]
	v_fma_f64 v[151:152], v[129:130], s[14:15], v[151:152]
	v_fma_f64 v[129:130], v[141:142], s[14:15], -v[2:3]
	v_mul_f64_e32 v[2:3], s[40:41], v[143:144]
	v_fma_f64 v[32:33], v[133:134], s[14:15], v[139:140]
	v_fma_f64 v[139:140], v[133:134], s[14:15], -v[139:140]
	v_fma_f64 v[74:75], v[133:134], s[22:23], v[137:138]
	v_fma_f64 v[133:134], v[133:134], s[22:23], -v[137:138]
	v_mul_f64_e32 v[137:138], s[26:27], v[145:146]
	v_mul_f64_e32 v[145:146], s[36:37], v[145:146]
	v_fma_f64 v[66:67], v[88:89], s[16:17], v[2:3]
	v_fma_f64 v[96:97], v[88:89], s[16:17], -v[2:3]
	v_add_f64_e32 v[139:140], v[139:140], v[4:5]
	v_fma_f64 v[112:113], v[141:142], s[28:29], -v[137:138]
	v_fma_f64 v[137:138], v[141:142], s[28:29], v[137:138]
	v_fma_f64 v[191:192], v[141:142], s[24:25], -v[145:146]
	v_fma_f64 v[175:176], v[141:142], s[24:25], v[145:146]
	v_mul_f64_e32 v[141:142], s[26:27], v[143:144]
	v_mul_f64_e32 v[145:146], s[34:35], v[143:144]
	;; [unrolled: 1-line block ×3, first 2 shown]
	s_delay_alu instid0(VALU_DEP_3) | instskip(SKIP_1) | instid1(VALU_DEP_4)
	v_fma_f64 v[44:45], v[88:89], s[28:29], v[141:142]
	v_fma_f64 v[141:142], v[88:89], s[28:29], -v[141:142]
	v_fma_f64 v[48:49], v[88:89], s[6:7], v[145:146]
	v_fma_f64 v[145:146], v[88:89], s[6:7], -v[145:146]
	;; [unrolled: 2-line block ×3, first 2 shown]
	v_add_f64_e32 v[143:144], v[16:17], v[233:234]
	v_add_f64_e32 v[16:17], v[12:13], v[247:248]
	;; [unrolled: 1-line block ×3, first 2 shown]
	s_delay_alu instid0(VALU_DEP_3) | instskip(NEXT) | instid1(VALU_DEP_3)
	v_add_f64_e32 v[143:144], v[203:204], v[143:144]
	v_add_f64_e32 v[203:204], v[205:206], v[16:17]
	s_delay_alu instid0(VALU_DEP_2) | instskip(NEXT) | instid1(VALU_DEP_1)
	v_add_f64_e32 v[122:123], v[123:124], v[143:144]
	v_add_f64_e32 v[94:95], v[94:95], v[122:123]
	s_wait_loadcnt 0x0
	v_add_f64_e32 v[6:7], v[63:64], v[0:1]
	scratch_load_b64 v[0:1], off, off offset:284 th:TH_LOAD_LU ; 8-byte Folded Reload
	v_add_f64_e32 v[6:7], v[207:208], v[6:7]
	s_delay_alu instid0(VALU_DEP_1) | instskip(NEXT) | instid1(VALU_DEP_1)
	v_add_f64_e32 v[6:7], v[131:132], v[6:7]
	v_add_f64_e32 v[98:99], v[98:99], v[6:7]
	s_wait_loadcnt 0x0
	v_add_f64_e32 v[8:9], v[227:228], v[0:1]
	scratch_load_b64 v[0:1], off, off offset:292 th:TH_LOAD_LU ; 8-byte Folded Reload
	v_add_f64_e32 v[8:9], v[100:101], v[8:9]
	s_delay_alu instid0(VALU_DEP_1) | instskip(NEXT) | instid1(VALU_DEP_1)
	;; [unrolled: 7-line block ×3, first 2 shown]
	v_add_f64_e32 v[10:11], v[155:156], v[10:11]
	v_add_f64_e32 v[10:11], v[102:103], v[10:11]
	s_wait_loadcnt 0x0
	v_add_f64_e32 v[12:13], v[235:236], v[0:1]
	s_clause 0x1
	scratch_load_b64 v[0:1], off, off offset:308 th:TH_LOAD_LU
	scratch_load_b64 v[2:3], off, off offset:428 th:TH_LOAD_LU
	v_add_f64_e32 v[12:13], v[239:240], v[12:13]
	s_delay_alu instid0(VALU_DEP_1) | instskip(NEXT) | instid1(VALU_DEP_1)
	v_add_f64_e32 v[12:13], v[78:79], v[12:13]
	v_add_f64_e32 v[12:13], v[36:37], v[12:13]
	s_wait_loadcnt 0x0
	v_add_f64_e32 v[14:15], v[2:3], v[0:1]
	s_clause 0x1
	scratch_load_b64 v[0:1], off, off offset:316 th:TH_LOAD_LU
	scratch_load_b64 v[2:3], off, off offset:436 th:TH_LOAD_LU
	v_add_f64_e32 v[14:15], v[211:212], v[14:15]
	s_delay_alu instid0(VALU_DEP_1) | instskip(NEXT) | instid1(VALU_DEP_1)
	;; [unrolled: 9-line block ×3, first 2 shown]
	v_add_f64_e32 v[78:79], v[249:250], v[100:101]
	v_add_f64_e32 v[36:37], v[38:39], v[78:79]
	s_wait_loadcnt 0x0
	v_add_f64_e32 v[231:232], v[2:3], v[0:1]
	s_clause 0x1
	scratch_load_b64 v[0:1], off, off offset:332 th:TH_LOAD_LU
	scratch_load_b64 v[2:3], off, off offset:452 th:TH_LOAD_LU
	s_wait_loadcnt 0x0
	v_add_f64_e32 v[227:228], v[2:3], v[0:1]
	s_clause 0x1
	scratch_load_b64 v[0:1], off, off offset:340 th:TH_LOAD_LU
	scratch_load_b64 v[2:3], off, off offset:460 th:TH_LOAD_LU
	v_add_f64_e32 v[207:208], v[241:242], v[227:228]
	s_delay_alu instid0(VALU_DEP_1) | instskip(NEXT) | instid1(VALU_DEP_1)
	v_add_f64_e32 v[80:81], v[80:81], v[207:208]
	v_add_f64_e32 v[40:41], v[40:41], v[80:81]
	s_wait_loadcnt 0x0
	v_add_f64_e32 v[251:252], v[2:3], v[0:1]
	s_clause 0x1
	scratch_load_b64 v[0:1], off, off offset:348 th:TH_LOAD_LU
	scratch_load_b64 v[2:3], off, off offset:468 th:TH_LOAD_LU
	s_wait_loadcnt 0x0
	v_add_f64_e32 v[247:248], v[2:3], v[0:1]
	s_clause 0x1
	scratch_load_b64 v[0:1], off, off offset:356 th:TH_LOAD_LU
	scratch_load_b64 v[2:3], off, off offset:476 th:TH_LOAD_LU
	v_add_f64_e32 v[114:115], v[114:115], v[247:248]
	s_delay_alu instid0(VALU_DEP_1) | instskip(NEXT) | instid1(VALU_DEP_1)
	v_add_f64_e32 v[114:115], v[70:71], v[114:115]
	v_add_f64_e32 v[42:43], v[42:43], v[114:115]
	;; [unrolled: 1-line block ×3, first 2 shown]
	s_wait_loadcnt 0x0
	v_add_f64_e32 v[62:63], v[2:3], v[0:1]
	s_clause 0x1
	scratch_load_b64 v[0:1], off, off offset:364 th:TH_LOAD_LU
	scratch_load_b64 v[2:3], off, off offset:484 th:TH_LOAD_LU
	s_wait_loadcnt 0x0
	v_add_f64_e32 v[64:65], v[2:3], v[0:1]
	scratch_load_b64 v[0:1], off, off offset:372 th:TH_LOAD_LU ; 8-byte Folded Reload
	v_add_f64_e32 v[64:65], v[243:244], v[64:65]
	s_delay_alu instid0(VALU_DEP_1) | instskip(NEXT) | instid1(VALU_DEP_1)
	v_add_f64_e32 v[64:65], v[82:83], v[64:65]
	v_add_f64_e32 v[46:47], v[46:47], v[64:65]
	s_wait_loadcnt 0x0
	v_add_f64_e32 v[215:216], v[215:216], v[0:1]
	s_clause 0x1
	scratch_load_b64 v[0:1], off, off offset:380 th:TH_LOAD_LU
	scratch_load_b64 v[2:3], off, off offset:500 th:TH_LOAD_LU
	s_wait_loadcnt 0x0
	v_add_f64_e32 v[60:61], v[2:3], v[0:1]
	scratch_load_b64 v[0:1], off, off offset:388 th:TH_LOAD_LU ; 8-byte Folded Reload
	s_wait_loadcnt 0x0
	v_add_f64_e32 v[135:136], v[135:136], v[0:1]
	s_clause 0x2
	scratch_load_b64 v[0:1], off, off offset:396 th:TH_LOAD_LU
	scratch_load_b64 v[2:3], off, off offset:492 th:TH_LOAD_LU
	scratch_load_b64 v[239:240], off, off offset:212
	v_add_f64_e32 v[135:136], v[245:246], v[135:136]
	s_delay_alu instid0(VALU_DEP_1) | instskip(NEXT) | instid1(VALU_DEP_1)
	v_add_f64_e32 v[84:85], v[84:85], v[135:136]
	v_add_f64_e32 v[52:53], v[52:53], v[84:85]
	s_wait_loadcnt 0x1
	v_add_f64_e32 v[237:238], v[2:3], v[0:1]
	scratch_load_b64 v[0:1], off, off offset:404 th:TH_LOAD_LU ; 8-byte Folded Reload
	s_wait_loadcnt 0x0
	v_add_f64_e32 v[217:218], v[217:218], v[0:1]
	scratch_load_b64 v[0:1], off, off offset:412 th:TH_LOAD_LU ; 8-byte Folded Reload
	v_add_f64_e32 v[163:164], v[163:164], v[217:218]
	s_delay_alu instid0(VALU_DEP_1) | instskip(NEXT) | instid1(VALU_DEP_1)
	v_add_f64_e32 v[90:91], v[90:91], v[163:164]
	v_add_f64_e32 v[74:75], v[74:75], v[90:91]
	s_wait_loadcnt 0x0
	v_add_f64_e32 v[177:178], v[177:178], v[0:1]
	scratch_load_b64 v[0:1], off, off offset:420 th:TH_LOAD_LU ; 8-byte Folded Reload
	s_wait_loadcnt 0x0
	v_add_f64_e32 v[165:166], v[165:166], v[0:1]
	scratch_load_b64 v[0:1], off, off offset:72 ; 8-byte Folded Reload
	v_add_f64_e32 v[157:158], v[157:158], v[165:166]
	s_delay_alu instid0(VALU_DEP_1)
	v_add_f64_e32 v[143:144], v[149:150], v[157:158]
	s_wait_loadcnt 0x0
	v_mul_f64_e32 v[213:214], s[2:3], v[0:1]
	scratch_load_b64 v[0:1], off, off offset:40 ; 8-byte Folded Reload
	scratch_store_b64 off, v[213:214], off offset:292 ; 8-byte Folded Spill
	s_wait_loadcnt 0x0
	v_fma_f64 v[225:226], v[0:1], s[6:7], -v[213:214]
	scratch_load_b128 v[0:3], off, off offset:8 ; 16-byte Folded Reload
	s_wait_loadcnt 0x0
	v_add_f64_e32 v[225:226], v[0:1], v[225:226]
	scratch_load_b64 v[0:1], off, off offset:64 ; 8-byte Folded Reload
	s_wait_loadcnt 0x0
	v_mul_f64_e32 v[213:214], s[12:13], v[0:1]
	scratch_load_b64 v[0:1], off, off offset:24 ; 8-byte Folded Reload
	scratch_store_b64 off, v[213:214], off offset:276 ; 8-byte Folded Spill
	s_wait_loadcnt 0x0
	v_fma_f64 v[213:214], v[0:1], s[16:17], -v[213:214]
	scratch_load_b64 v[0:1], off, off offset:80 ; 8-byte Folded Reload
	v_add_f64_e32 v[213:214], v[213:214], v[225:226]
	s_wait_loadcnt 0x0
	v_mul_f64_e32 v[223:224], s[6:7], v[0:1]
	scratch_load_b64 v[0:1], off, off offset:48 ; 8-byte Folded Reload
	scratch_store_b64 off, v[223:224], off offset:300 ; 8-byte Folded Spill
	s_wait_loadcnt 0x0
	v_fma_f64 v[225:226], v[0:1], s[2:3], v[223:224]
	scratch_load_b64 v[0:1], off, off offset:56 ; 8-byte Folded Reload
	v_add_f64_e32 v[225:226], v[2:3], v[225:226]
	s_wait_loadcnt 0x0
	v_mul_f64_e32 v[223:224], s[16:17], v[0:1]
	scratch_load_b64 v[0:1], off, off offset:32 ; 8-byte Folded Reload
	scratch_store_b64 off, v[223:224], off offset:284 ; 8-byte Folded Spill
	s_wait_loadcnt 0x0
	v_fma_f64 v[223:224], v[0:1], s[12:13], v[223:224]
	v_add_f64_e32 v[0:1], v[253:254], v[233:234]
	scratch_load_b64 v[253:254], off, off offset:236 ; 8-byte Folded Reload
	v_add_f64_e32 v[223:224], v[223:224], v[225:226]
	s_clause 0x3
	scratch_load_b64 v[225:226], off, off offset:204
	scratch_load_b64 v[235:236], off, off offset:172
	;; [unrolled: 1-line block ×3, first 2 shown]
	scratch_load_b64 v[2:3], off, off offset:556 th:TH_LOAD_LU
	v_add_f64_e32 v[0:1], v[86:87], v[0:1]
	v_add_f64_e32 v[86:87], v[159:160], v[203:204]
	s_delay_alu instid0(VALU_DEP_2) | instskip(NEXT) | instid1(VALU_DEP_2)
	v_add_f64_e32 v[122:123], v[32:33], v[0:1]
	v_add_f64_e32 v[86:87], v[151:152], v[86:87]
	s_wait_loadcnt 0x2
	v_mul_f64_e32 v[34:35], s[26:27], v[235:236]
	s_wait_loadcnt 0x0
	v_add_f64_e32 v[205:206], v[2:3], v[231:232]
	s_clause 0x3
	scratch_load_b64 v[231:232], off, off offset:156
	scratch_load_b64 v[241:242], off, off offset:228
	;; [unrolled: 1-line block ×3, first 2 shown]
	scratch_load_b64 v[2:3], off, off offset:548 th:TH_LOAD_LU
	v_add_f64_e32 v[100:101], v[183:184], v[205:206]
	s_delay_alu instid0(VALU_DEP_1)
	v_add_f64_e32 v[38:39], v[106:107], v[100:101]
	s_wait_loadcnt 0x3
	v_mul_f64_e32 v[90:91], s[28:29], v[231:232]
	s_wait_loadcnt 0x0
	v_add_f64_e32 v[209:210], v[2:3], v[251:252]
	scratch_load_b64 v[2:3], off, off offset:540 th:TH_LOAD_LU ; 8-byte Folded Reload
	v_fma_f64 v[106:107], v[225:226], s[26:27], v[90:91]
	v_add_f64_e32 v[131:132], v[187:188], v[209:210]
	s_delay_alu instid0(VALU_DEP_1) | instskip(SKIP_4) | instid1(VALU_DEP_1)
	v_add_f64_e32 v[78:79], v[110:111], v[131:132]
	s_wait_loadcnt 0x0
	v_add_f64_e32 v[62:63], v[2:3], v[62:63]
	scratch_load_b64 v[2:3], off, off offset:532 th:TH_LOAD_LU ; 8-byte Folded Reload
	v_add_f64_e32 v[62:63], v[193:194], v[62:63]
	v_add_f64_e32 v[62:63], v[116:117], v[62:63]
	s_wait_loadcnt 0x0
	v_add_f64_e32 v[211:212], v[2:3], v[215:216]
	s_clause 0x1
	scratch_load_b64 v[2:3], off, off offset:524 th:TH_LOAD_LU
	scratch_load_b64 v[215:216], off, off offset:220
	v_add_f64_e32 v[82:83], v[195:196], v[211:212]
	s_delay_alu instid0(VALU_DEP_1)
	v_add_f64_e32 v[64:65], v[120:121], v[82:83]
	v_add_f64_e32 v[82:83], v[133:134], v[143:144]
	v_add_f64_e32 v[132:133], v[171:172], v[78:79]
	s_wait_loadcnt 0x1
	v_add_f64_e32 v[60:61], v[2:3], v[60:61]
	scratch_load_b64 v[2:3], off, off offset:516 th:TH_LOAD_LU ; 8-byte Folded Reload
	v_add_f64_e32 v[60:61], v[201:202], v[60:61]
	s_delay_alu instid0(VALU_DEP_1) | instskip(SKIP_1) | instid1(VALU_DEP_2)
	v_add_f64_e32 v[60:61], v[147:148], v[60:61]
	v_add_f64_e32 v[146:147], v[92:93], v[52:53]
	;; [unrolled: 1-line block ×3, first 2 shown]
	s_wait_loadcnt 0x0
	v_add_f64_e32 v[169:170], v[2:3], v[237:238]
	s_clause 0x4
	scratch_load_b64 v[237:238], off, off offset:164
	scratch_load_b64 v[217:218], off, off offset:196
	scratch_load_b64 v[2:3], off, off offset:508 th:TH_LOAD_LU
	scratch_load_b64 v[173:174], off, off offset:140
	scratch_load_b64 v[163:164], off, off offset:116
	v_add_f64_e32 v[127:128], v[219:220], v[169:170]
	s_delay_alu instid0(VALU_DEP_1)
	v_add_f64_e32 v[76:77], v[197:198], v[127:128]
	s_wait_loadcnt 0x2
	v_add_f64_e32 v[177:178], v[2:3], v[177:178]
	v_mul_f64_e32 v[2:3], s[20:21], v[253:254]
	s_wait_loadcnt 0x1
	v_mul_f64_e32 v[0:1], s[10:11], v[173:174]
	s_wait_loadcnt 0x0
	v_mul_f64_e32 v[32:33], s[14:15], v[163:164]
	s_delay_alu instid0(VALU_DEP_4) | instskip(NEXT) | instid1(VALU_DEP_4)
	v_add_f64_e32 v[135:136], v[221:222], v[177:178]
	v_fma_f64 v[161:162], v[241:242], s[24:25], -v[2:3]
	s_delay_alu instid0(VALU_DEP_4) | instskip(NEXT) | instid1(VALU_DEP_4)
	v_fma_f64 v[4:5], v[227:228], s[14:15], -v[0:1]
	v_fma_f64 v[6:7], v[233:234], s[10:11], v[32:33]
	s_delay_alu instid0(VALU_DEP_4) | instskip(NEXT) | instid1(VALU_DEP_4)
	v_add_f64_e32 v[80:81], v[199:200], v[135:136]
	v_add_f64_e32 v[165:166], v[161:162], v[213:214]
	v_mul_f64_e32 v[161:162], s[24:25], v[217:218]
	v_add_f64_e32 v[134:135], v[66:67], v[42:43]
	s_delay_alu instid0(VALU_DEP_2) | instskip(NEXT) | instid1(VALU_DEP_1)
	v_fma_f64 v[213:214], v[215:216], s[20:21], v[161:162]
	v_add_f64_e32 v[213:214], v[213:214], v[223:224]
	s_clause 0x2
	scratch_load_b64 v[223:224], off, off offset:148
	scratch_load_b64 v[158:159], off, off offset:132
	;; [unrolled: 1-line block ×3, first 2 shown]
	s_wait_loadcnt 0x1
	v_mul_f64_e32 v[54:55], s[18:19], v[158:159]
	v_fma_f64 v[100:101], v[223:224], s[28:29], -v[34:35]
	s_delay_alu instid0(VALU_DEP_2) | instskip(NEXT) | instid1(VALU_DEP_1)
	v_fma_f64 v[70:71], v[237:238], s[22:23], -v[54:55]
	v_add_f64_e32 v[149:150], v[70:71], v[165:166]
	s_wait_loadcnt 0x0
	v_mul_f64_e32 v[70:71], s[22:23], v[156:157]
	s_delay_alu instid0(VALU_DEP_2)
	v_add_f64_e32 v[84:85], v[4:5], v[149:150]
	scratch_load_b64 v[4:5], off, off offset:244 th:TH_LOAD_LU ; 8-byte Folded Reload
	v_fma_f64 v[153:154], v[239:240], s[18:19], v[70:71]
	v_add_f64_e32 v[148:149], v[191:192], v[76:77]
	v_add_f64_e32 v[150:151], v[72:73], v[74:75]
	;; [unrolled: 1-line block ×3, first 2 shown]
	s_delay_alu instid0(VALU_DEP_4) | instskip(NEXT) | instid1(VALU_DEP_1)
	v_add_f64_e32 v[153:154], v[153:154], v[213:214]
	v_add_f64_e32 v[110:111], v[6:7], v[153:154]
	;; [unrolled: 1-line block ×7, first 2 shown]
	s_wait_loadcnt 0x0
	v_add_f64_e32 v[102:103], v[4:5], v[28:29]
	scratch_load_b64 v[4:5], off, off offset:252 th:TH_LOAD_LU ; 8-byte Folded Reload
	v_add_f64_e32 v[28:29], v[118:119], v[98:99]
	v_add_f64_e32 v[16:17], v[102:103], v[179:180]
	s_wait_loadcnt 0x0
	v_add_f64_e32 v[104:105], v[4:5], v[30:31]
	scratch_load_b64 v[4:5], off, off offset:260 th:TH_LOAD_LU ; 8-byte Folded Reload
	v_add_f64_e32 v[30:31], v[48:49], v[8:9]
	s_wait_loadcnt 0x0
	v_add_f64_e32 v[116:117], v[4:5], v[24:25]
	scratch_load_b64 v[4:5], off, off offset:268 th:TH_LOAD_LU ; 8-byte Folded Reload
	v_add_f64_e32 v[24:25], v[112:113], v[94:95]
	v_add_f64_e32 v[112:113], v[125:126], v[10:11]
	;; [unrolled: 1-line block ×7, first 2 shown]
	global_wb scope:SCOPE_SE
	s_wait_loadcnt 0x0
	s_wait_storecnt 0x0
	s_barrier_signal -1
	s_barrier_wait -1
	global_inv scope:SCOPE_SE
	v_add_f64_e32 v[8:9], v[116:117], v[20:21]
	v_mul_u32_u24_e32 v20, 0xd0, v229
	s_delay_alu instid0(VALU_DEP_1)
	v_add3_u32 v20, 0, v20, v255
	v_add_f64_e32 v[120:121], v[4:5], v[26:27]
	v_add_f64_e32 v[4:5], v[137:138], v[86:87]
	;; [unrolled: 1-line block ×6, first 2 shown]
	v_add_nc_u32_e32 v123, 39, v229
	ds_store_b128 v20, v[28:31] offset:32
	ds_store_b128 v20, v[124:127] offset:48
	ds_store_b128 v20, v[132:135] offset:64
	ds_store_b128 v20, v[140:143] offset:80
	ds_store_b128 v20, v[148:151] offset:96
	ds_store_b128 v20, v[152:155] offset:112
	ds_store_b128 v20, v[144:147] offset:128
	ds_store_b128 v20, v[136:139] offset:144
	ds_store_b128 v20, v[128:131] offset:160
	ds_store_b128 v20, v[112:115] offset:176
	ds_store_b128 v20, v[16:19]
	ds_store_b128 v20, v[24:27] offset:16
	ds_store_b128 v20, v[4:7] offset:192
	v_add_f64_e32 v[10:11], v[120:121], v[22:23]
	v_cmpx_gt_u32_e32 3, v229
	s_cbranch_execz .LBB0_18
; %bb.17:
	s_clause 0x8
	scratch_load_b64 v[58:59], off, off offset:80 th:TH_LOAD_LU
	scratch_load_b64 v[60:61], off, off offset:72 th:TH_LOAD_LU
	;; [unrolled: 1-line block ×6, first 2 shown]
	scratch_load_b128 v[219:222], off, off offset:8 th:TH_LOAD_LU
	scratch_load_b64 v[82:83], off, off offset:56 th:TH_LOAD_LU
	scratch_load_b64 v[245:246], off, off offset:32 th:TH_LOAD_LU
	v_mul_f64_e32 v[28:29], s[10:11], v[253:254]
	v_mul_f64_e32 v[26:27], s[14:15], v[217:218]
	;; [unrolled: 1-line block ×38, first 2 shown]
	v_fma_f64 v[177:178], v[241:242], s[14:15], v[28:29]
	v_fma_f64 v[175:176], v[215:216], s[30:31], v[26:27]
	;; [unrolled: 1-line block ×8, first 2 shown]
	v_fma_f64 v[28:29], v[241:242], s[14:15], -v[28:29]
	v_fma_f64 v[52:53], v[241:242], s[16:17], -v[52:53]
	v_fma_f64 v[205:206], v[241:242], s[22:23], v[76:77]
	v_fma_f64 v[76:77], v[241:242], s[22:23], -v[76:77]
	v_fma_f64 v[217:218], v[237:238], s[16:17], v[98:99]
	v_add_f64_e32 v[2:3], v[22:23], v[2:3]
	v_add_f64_e64 v[24:25], v[161:162], -v[24:25]
	v_fma_f64 v[98:99], v[237:238], s[16:17], -v[98:99]
	v_fma_f64 v[160:161], v[239:240], s[26:27], v[120:121]
	v_mul_f64_e32 v[136:137], s[18:19], v[235:236]
	v_mul_f64_e32 v[132:133], s[22:23], v[231:232]
	;; [unrolled: 1-line block ×4, first 2 shown]
	v_add_f64_e64 v[70:71], v[70:71], -v[102:103]
	v_add_f64_e32 v[0:1], v[104:105], v[0:1]
	v_add_f64_e64 v[32:33], v[32:33], -v[106:107]
	v_add_f64_e32 v[108:109], v[108:109], v[34:35]
	s_wait_loadcnt 0x8
	v_mul_f64_e32 v[36:37], s[28:29], v[58:59]
	s_wait_loadcnt 0x7
	v_mul_f64_e32 v[112:113], s[26:27], v[60:61]
	;; [unrolled: 2-line block ×3, first 2 shown]
	v_mul_f64_e32 v[38:39], s[10:11], v[60:61]
	v_mul_f64_e32 v[42:43], s[18:19], v[60:61]
	;; [unrolled: 1-line block ×4, first 2 shown]
	s_wait_loadcnt 0x5
	v_mul_f64_e32 v[18:19], s[6:7], v[191:192]
	s_wait_loadcnt 0x4
	v_mul_f64_e32 v[20:21], s[2:3], v[193:194]
	;; [unrolled: 2-line block ×3, first 2 shown]
	v_mul_f64_e32 v[114:115], s[6:7], v[82:83]
	v_mul_f64_e32 v[116:117], s[14:15], v[58:59]
	;; [unrolled: 1-line block ×14, first 2 shown]
	v_fma_f64 v[92:93], v[193:194], s[42:43], v[36:37]
	v_fma_f64 v[94:95], v[191:192], s[28:29], v[112:113]
	;; [unrolled: 1-line block ×3, first 2 shown]
	v_fma_f64 v[112:113], v[191:192], s[28:29], -v[112:113]
	v_fma_f64 v[171:172], v[191:192], s[14:15], v[38:39]
	v_fma_f64 v[38:39], v[191:192], s[14:15], -v[38:39]
	v_fma_f64 v[181:182], v[191:192], s[22:23], v[42:43]
	;; [unrolled: 2-line block ×4, first 2 shown]
	v_fma_f64 v[60:61], v[191:192], s[16:17], -v[60:61]
	scratch_load_b64 v[191:192], off, off offset:300 th:TH_LOAD_LU ; 8-byte Folded Reload
	v_fma_f64 v[36:37], v[193:194], s[26:27], v[36:37]
	v_fma_f64 v[165:166], v[245:246], s[2:3], v[114:115]
	;; [unrolled: 1-line block ×11, first 2 shown]
	v_fma_f64 v[30:31], v[243:244], s[6:7], -v[30:31]
	v_fma_f64 v[193:194], v[245:246], s[20:21], v[46:47]
	v_fma_f64 v[197:198], v[243:244], s[24:25], v[56:57]
	;; [unrolled: 1-line block ×3, first 2 shown]
	v_fma_f64 v[56:57], v[243:244], s[24:25], -v[56:57]
	v_fma_f64 v[201:202], v[245:246], s[10:11], v[64:65]
	v_fma_f64 v[64:65], v[245:246], s[30:31], v[64:65]
	;; [unrolled: 1-line block ×4, first 2 shown]
	v_fma_f64 v[213:214], v[243:244], s[22:23], -v[86:87]
	v_fma_f64 v[207:208], v[243:244], s[28:29], v[78:79]
	v_fma_f64 v[74:75], v[245:246], s[26:27], v[74:75]
	v_fma_f64 v[78:79], v[243:244], s[28:29], -v[78:79]
	v_fma_f64 v[82:83], v[245:246], s[38:39], v[82:83]
	v_add_f64_e32 v[92:93], v[221:222], v[92:93]
	v_add_f64_e32 v[94:95], v[219:220], v[94:95]
	v_fma_f64 v[86:87], v[243:244], s[22:23], v[86:87]
	v_add_f64_e32 v[112:113], v[219:220], v[112:113]
	v_add_f64_e32 v[171:172], v[219:220], v[171:172]
	;; [unrolled: 1-line block ×17, first 2 shown]
	v_fma_f64 v[165:166], v[243:244], s[14:15], v[68:69]
	v_fma_f64 v[68:69], v[243:244], s[14:15], -v[68:69]
	v_fma_f64 v[167:168], v[215:216], s[18:19], v[72:73]
	v_fma_f64 v[72:73], v[215:216], s[38:39], v[72:73]
	v_add_f64_e32 v[30:31], v[30:31], v[112:113]
	v_add_f64_e32 v[38:39], v[56:57], v[38:39]
	v_fma_f64 v[56:57], v[233:234], s[38:39], v[118:119]
	v_add_f64_e32 v[50:51], v[78:79], v[50:51]
	v_fma_f64 v[118:119], v[233:234], s[18:19], v[118:119]
	v_add_f64_e32 v[60:61], v[213:214], v[60:61]
	v_add_f64_e32 v[36:37], v[114:115], v[36:37]
	v_fma_f64 v[114:115], v[241:242], s[6:7], v[66:67]
	v_fma_f64 v[66:67], v[241:242], s[6:7], -v[66:67]
	v_add_f64_e32 v[112:113], v[193:194], v[169:170]
	v_add_f64_e32 v[169:170], v[197:198], v[171:172]
	;; [unrolled: 1-line block ×8, first 2 shown]
	v_fma_f64 v[64:65], v[237:238], s[28:29], v[124:125]
	v_fma_f64 v[179:180], v[225:226], s[20:21], v[128:129]
	v_add_f64_e32 v[92:93], v[175:176], v[92:93]
	v_add_f64_e32 v[94:95], v[177:178], v[94:95]
	scratch_load_b64 v[177:178], off, off offset:284 th:TH_LOAD_LU ; 8-byte Folded Reload
	v_add_f64_e32 v[175:176], v[219:220], v[189:190]
	v_add_f64_e32 v[116:117], v[165:166], v[181:182]
	;; [unrolled: 1-line block ×4, first 2 shown]
	v_fma_f64 v[68:69], v[227:228], s[22:23], v[126:127]
	v_add_f64_e32 v[28:29], v[28:29], v[30:31]
	v_add_f64_e32 v[38:39], v[52:53], v[38:39]
	;; [unrolled: 1-line block ×3, first 2 shown]
	v_fma_f64 v[76:77], v[237:238], s[14:15], v[156:157]
	v_fma_f64 v[52:53], v[227:228], s[6:7], v[138:139]
	v_add_f64_e32 v[26:27], v[26:27], v[36:37]
	v_add_f64_e32 v[36:37], v[219:220], v[185:186]
	v_fma_f64 v[181:182], v[223:224], s[24:25], v[130:131]
	v_add_f64_e32 v[74:75], v[195:196], v[169:170]
	v_add_f64_e32 v[82:83], v[82:83], v[171:172]
	;; [unrolled: 1-line block ×6, first 2 shown]
	v_fma_f64 v[62:63], v[237:238], s[6:7], v[152:153]
	v_fma_f64 v[72:73], v[239:240], s[10:11], v[154:155]
	v_mul_f64_e32 v[80:81], s[16:17], v[231:232]
	v_add_f64_e32 v[86:87], v[86:87], v[175:176]
	v_add_f64_e32 v[114:115], v[114:115], v[116:117]
	v_fma_f64 v[116:117], v[239:240], s[2:3], v[150:151]
	v_add_f64_e32 v[42:43], v[66:67], v[42:43]
	v_fma_f64 v[66:67], v[239:240], s[34:35], v[150:151]
	v_fma_f64 v[150:151], v[237:238], s[14:15], -v[156:157]
	v_add_f64_e32 v[28:29], v[98:99], v[28:29]
	v_mul_f64_e32 v[98:99], s[14:15], v[231:232]
	v_add_f64_e32 v[36:37], v[207:208], v[36:37]
	v_add_f64_e32 v[64:65], v[64:65], v[74:75]
	;; [unrolled: 1-line block ×3, first 2 shown]
	v_fma_f64 v[82:83], v[233:234], s[26:27], v[140:141]
	v_add_f64_e32 v[48:49], v[66:67], v[48:49]
	v_fma_f64 v[66:67], v[227:228], s[16:17], -v[158:159]
	v_add_f64_e32 v[36:37], v[205:206], v[36:37]
	v_add_f64_e32 v[52:53], v[52:53], v[64:65]
	;; [unrolled: 1-line block ×3, first 2 shown]
	v_fma_f64 v[74:75], v[227:228], s[24:25], v[173:174]
	v_fma_f64 v[64:65], v[225:226], s[18:19], v[132:133]
	v_add_f64_e32 v[36:37], v[62:63], v[36:37]
	v_fma_f64 v[62:63], v[233:234], s[20:21], v[163:164]
	s_delay_alu instid0(VALU_DEP_1)
	v_add_f64_e32 v[62:63], v[62:63], v[72:73]
	s_wait_loadcnt 0x1
	v_add_f64_e64 v[20:21], v[191:192], -v[20:21]
	scratch_load_b64 v[191:192], off, off offset:292 th:TH_LOAD_LU ; 8-byte Folded Reload
	v_add_f64_e32 v[20:21], v[221:222], v[20:21]
	s_wait_loadcnt 0x1
	v_add_f64_e64 v[16:17], v[177:178], -v[16:17]
	scratch_load_b64 v[177:178], off, off offset:276 th:TH_LOAD_LU ; 8-byte Folded Reload
	v_add_f64_e32 v[16:17], v[16:17], v[20:21]
	v_fma_f64 v[20:21], v[233:234], s[2:3], v[134:135]
	s_delay_alu instid0(VALU_DEP_2) | instskip(SKIP_3) | instid1(VALU_DEP_4)
	v_add_f64_e32 v[16:17], v[24:25], v[16:17]
	v_add_f64_e32 v[24:25], v[100:101], v[54:55]
	v_fma_f64 v[54:55], v[227:228], s[6:7], -v[138:139]
	v_fma_f64 v[100:101], v[233:234], s[40:41], v[148:149]
	v_add_f64_e32 v[16:17], v[70:71], v[16:17]
	v_fma_f64 v[70:71], v[225:226], s[38:39], v[132:133]
	s_wait_loadcnt 0x1
	v_add_f64_e32 v[18:19], v[18:19], v[191:192]
	v_fma_f64 v[191:192], v[215:216], s[40:41], v[44:45]
	v_fma_f64 v[44:45], v[215:216], s[12:13], v[44:45]
	;; [unrolled: 1-line block ×4, first 2 shown]
	v_add_f64_e32 v[18:19], v[219:220], v[18:19]
	v_add_f64_e32 v[30:31], v[191:192], v[112:113]
	v_fma_f64 v[112:113], v[239:240], s[42:43], v[120:121]
	v_add_f64_e32 v[78:79], v[215:216], v[92:93]
	v_add_f64_e32 v[26:27], v[96:97], v[26:27]
	v_fma_f64 v[96:97], v[227:228], s[22:23], -v[126:127]
	v_add_f64_e32 v[44:45], v[44:45], v[46:47]
	v_fma_f64 v[46:47], v[239:240], s[36:37], v[142:143]
	v_fma_f64 v[120:121], v[237:238], s[24:25], v[146:147]
	v_fma_f64 v[126:127], v[237:238], s[24:25], -v[146:147]
	v_fma_f64 v[146:147], v[239:240], s[30:31], v[154:155]
	v_add_f64_e32 v[92:93], v[217:218], v[94:95]
	v_fma_f64 v[94:95], v[225:226], s[36:37], v[128:129]
	v_fma_f64 v[128:129], v[237:238], s[6:7], -v[152:153]
	v_add_f64_e32 v[30:31], v[160:161], v[30:31]
	v_add_f64_e32 v[56:57], v[56:57], v[78:79]
	;; [unrolled: 1-line block ×3, first 2 shown]
	v_mul_f64_e32 v[118:119], s[6:7], v[231:232]
	v_add_f64_e32 v[44:45], v[112:113], v[44:45]
	v_mul_f64_e32 v[112:113], s[10:11], v[235:236]
	v_add_f64_e32 v[22:23], v[46:47], v[22:23]
	v_add_f64_e32 v[42:43], v[126:127], v[42:43]
	;; [unrolled: 1-line block ×3, first 2 shown]
	v_fma_f64 v[126:127], v[227:228], s[24:25], -v[173:174]
	v_add_f64_e32 v[68:69], v[68:69], v[92:93]
	v_add_f64_e32 v[50:51], v[128:129], v[50:51]
	v_mul_f64_e32 v[46:47], s[40:41], v[235:236]
	v_fma_f64 v[92:93], v[227:228], s[28:29], -v[144:145]
	v_add_f64_e32 v[28:29], v[96:97], v[28:29]
	s_wait_loadcnt 0x0
	v_add_f64_e32 v[88:89], v[88:89], v[177:178]
	v_fma_f64 v[177:178], v[241:242], s[28:29], v[84:85]
	v_fma_f64 v[84:85], v[241:242], s[28:29], -v[84:85]
	v_add_f64_e32 v[20:21], v[20:21], v[30:31]
	v_fma_f64 v[30:31], v[223:224], s[22:23], v[136:137]
	v_fma_f64 v[106:107], v[225:226], s[2:3], v[118:119]
	v_add_f64_e32 v[82:83], v[82:83], v[22:23]
	v_add_f64_e32 v[50:51], v[66:67], v[50:51]
	v_fma_f64 v[96:97], v[223:224], s[16:17], v[46:47]
	v_fma_f64 v[46:47], v[223:224], s[16:17], -v[46:47]
	v_add_f64_e32 v[42:43], v[92:93], v[42:43]
	v_fma_f64 v[92:93], v[223:224], s[14:15], v[112:113]
	v_add_f64_e32 v[18:19], v[88:89], v[18:19]
	v_fma_f64 v[88:89], v[237:238], s[28:29], -v[124:125]
	v_fma_f64 v[124:125], v[239:240], s[20:21], v[142:143]
	v_add_f64_e32 v[142:143], v[167:168], v[165:166]
	v_add_f64_e32 v[60:61], v[84:85], v[60:61]
	;; [unrolled: 1-line block ×4, first 2 shown]
	v_mul_f64_e32 v[120:121], s[34:35], v[235:236]
	v_fma_f64 v[84:85], v[227:228], s[28:29], v[144:145]
	v_fma_f64 v[114:115], v[227:228], s[16:17], v[158:159]
	v_add_f64_e32 v[22:23], v[70:71], v[20:21]
	v_add_f64_e32 v[20:21], v[30:31], v[52:53]
	v_add_f64_e32 v[2:3], v[2:3], v[18:19]
	v_add_f64_e32 v[38:39], v[88:89], v[38:39]
	v_fma_f64 v[88:89], v[233:234], s[42:43], v[140:141]
	v_add_f64_e32 v[40:41], v[124:125], v[40:41]
	v_add_f64_e32 v[102:103], v[116:117], v[142:143]
	v_fma_f64 v[124:125], v[233:234], s[36:37], v[163:164]
	v_add_f64_e32 v[60:61], v[150:151], v[60:61]
	v_fma_f64 v[116:117], v[233:234], s[12:13], v[148:149]
	v_fma_f64 v[18:19], v[233:234], s[34:35], v[134:135]
	v_add_f64_e32 v[76:77], v[76:77], v[78:79]
	v_fma_f64 v[78:79], v[223:224], s[22:23], -v[136:137]
	v_fma_f64 v[104:105], v[223:224], s[6:7], -v[120:121]
	v_add_f64_e32 v[84:85], v[84:85], v[86:87]
	v_fma_f64 v[86:87], v[225:226], s[30:31], v[98:99]
	v_fma_f64 v[98:99], v[225:226], s[10:11], v[98:99]
	v_add_f64_e32 v[66:67], v[114:115], v[36:37]
	v_fma_f64 v[72:73], v[223:224], s[6:7], v[120:121]
	v_add_f64_e32 v[2:3], v[24:25], v[2:3]
	v_fma_f64 v[24:25], v[223:224], s[24:25], -v[130:131]
	v_add_f64_e32 v[38:39], v[54:55], v[38:39]
	v_add_f64_e32 v[40:41], v[88:89], v[40:41]
	;; [unrolled: 1-line block ×3, first 2 shown]
	v_fma_f64 v[102:103], v[225:226], s[34:35], v[118:119]
	v_add_f64_e32 v[58:59], v[124:125], v[58:59]
	v_add_f64_e32 v[60:61], v[126:127], v[60:61]
	;; [unrolled: 1-line block ×3, first 2 shown]
	v_fma_f64 v[100:101], v[223:224], s[14:15], -v[112:113]
	v_fma_f64 v[54:55], v[225:226], s[12:13], v[80:81]
	v_fma_f64 v[80:81], v[225:226], s[40:41], v[80:81]
	v_add_f64_e32 v[44:45], v[18:19], v[44:45]
	v_add_f64_e32 v[74:75], v[74:75], v[76:77]
	v_add_f64_e64 v[76:77], v[90:91], -v[110:111]
	v_add_f64_e32 v[90:91], v[32:33], v[16:17]
	v_add_f64_e32 v[18:19], v[94:95], v[26:27]
	;; [unrolled: 1-line block ×21, first 2 shown]
	v_mul_u32_u24_e32 v56, 0xd0, v123
	s_delay_alu instid0(VALU_DEP_1)
	v_add3_u32 v56, 0, v56, v255
	v_add_f64_e32 v[52:53], v[108:109], v[110:111]
	ds_store_b128 v56, v[8:11]
	ds_store_b128 v56, v[12:15] offset:16
	ds_store_b128 v56, v[36:39] offset:32
	;; [unrolled: 1-line block ×12, first 2 shown]
.LBB0_18:
	s_wait_alu 0xfffe
	s_or_b32 exec_lo, exec_lo, s1
	global_wb scope:SCOPE_SE
	s_wait_dscnt 0x0
	s_barrier_signal -1
	s_barrier_wait -1
	global_inv scope:SCOPE_SE
	scratch_load_b32 v116, off, off offset:112 ; 4-byte Folded Reload
	v_cmp_gt_u32_e64 s0, 26, v229
	s_wait_loadcnt 0x0
	ds_load_b128 v[20:23], v116
	ds_load_b128 v[16:19], v230 offset:624
	ds_load_b128 v[44:47], v230 offset:2912
	;; [unrolled: 1-line block ×11, first 2 shown]
	s_and_saveexec_b32 s1, s0
	s_cbranch_execz .LBB0_20
; %bb.19:
	ds_load_b128 v[4:7], v230 offset:2496
	ds_load_b128 v[8:11], v230 offset:5408
	;; [unrolled: 1-line block ×3, first 2 shown]
.LBB0_20:
	s_wait_alu 0xfffe
	s_or_b32 exec_lo, exec_lo, s1
	v_and_b32_e32 v60, 0xff, v229
	v_add_nc_u16 v61, v229, 0x4e
	v_and_b32_e32 v62, 0xff, v123
	v_add_nc_u16 v63, v229, 0x75
	s_mov_b32 s2, 0xe8584caa
	v_mul_lo_u16 v60, 0x4f, v60
	v_and_b32_e32 v64, 0xff, v61
	v_mul_lo_u16 v62, 0x4f, v62
	s_mov_b32 s3, 0x3febb67a
	s_mov_b32 s7, 0xbfebb67a
	v_lshrrev_b16 v108, 10, v60
	v_and_b32_e32 v60, 0xff, v63
	v_mul_lo_u16 v64, 0x4f, v64
	v_lshrrev_b16 v109, 10, v62
	s_wait_alu 0xfffe
	s_mov_b32 s6, s2
	v_mul_lo_u16 v62, v108, 13
	v_mul_lo_u16 v60, 0x4f, v60
	v_lshrrev_b16 v110, 10, v64
	v_mul_lo_u16 v64, v109, 13
	s_delay_alu instid0(VALU_DEP_4) | instskip(NEXT) | instid1(VALU_DEP_4)
	v_sub_nc_u16 v62, v229, v62
	v_lshrrev_b16 v111, 10, v60
	s_delay_alu instid0(VALU_DEP_4) | instskip(NEXT) | instid1(VALU_DEP_4)
	v_mul_lo_u16 v60, v110, 13
	v_sub_nc_u16 v64, v123, v64
	s_delay_alu instid0(VALU_DEP_4) | instskip(NEXT) | instid1(VALU_DEP_4)
	v_and_b32_e32 v112, 0xff, v62
	v_mul_lo_u16 v62, v111, 13
	s_delay_alu instid0(VALU_DEP_4) | instskip(NEXT) | instid1(VALU_DEP_4)
	v_sub_nc_u16 v60, v61, v60
	v_and_b32_e32 v113, 0xff, v64
	s_delay_alu instid0(VALU_DEP_4) | instskip(NEXT) | instid1(VALU_DEP_4)
	v_lshlrev_b32_e32 v61, 5, v112
	v_sub_nc_u16 v62, v63, v62
	s_delay_alu instid0(VALU_DEP_4) | instskip(NEXT) | instid1(VALU_DEP_4)
	v_and_b32_e32 v114, 0xff, v60
	v_lshlrev_b32_e32 v60, 5, v113
	s_clause 0x1
	global_load_b128 v[68:71], v61, s[4:5]
	global_load_b128 v[72:75], v61, s[4:5] offset:16
	v_and_b32_e32 v115, 0xff, v62
	v_lshlrev_b32_e32 v61, 5, v114
	s_clause 0x1
	global_load_b128 v[76:79], v60, s[4:5]
	global_load_b128 v[80:83], v60, s[4:5] offset:16
	v_lshlrev_b32_e32 v60, 5, v115
	s_clause 0x3
	global_load_b128 v[84:87], v61, s[4:5]
	global_load_b128 v[88:91], v61, s[4:5] offset:16
	global_load_b128 v[92:95], v60, s[4:5]
	global_load_b128 v[96:99], v60, s[4:5] offset:16
	global_wb scope:SCOPE_SE
	s_wait_loadcnt_dscnt 0x0
	s_barrier_signal -1
	s_barrier_wait -1
	global_inv scope:SCOPE_SE
	v_mul_f64_e32 v[60:61], v[46:47], v[70:71]
	v_mul_f64_e32 v[62:63], v[54:55], v[74:75]
	;; [unrolled: 1-line block ×16, first 2 shown]
	v_fma_f64 v[44:45], v[44:45], v[68:69], -v[60:61]
	v_fma_f64 v[52:53], v[52:53], v[72:73], -v[62:63]
	v_fma_f64 v[46:47], v[46:47], v[68:69], v[64:65]
	v_fma_f64 v[54:55], v[54:55], v[72:73], v[66:67]
	v_fma_f64 v[28:29], v[28:29], v[76:77], -v[70:71]
	v_fma_f64 v[36:37], v[36:37], v[80:81], -v[74:75]
	v_fma_f64 v[30:31], v[30:31], v[76:77], v[78:79]
	v_fma_f64 v[38:39], v[38:39], v[80:81], v[82:83]
	v_fma_f64 v[48:49], v[48:49], v[84:85], -v[100:101]
	v_fma_f64 v[56:57], v[56:57], v[88:89], -v[102:103]
	v_fma_f64 v[50:51], v[50:51], v[84:85], v[86:87]
	v_fma_f64 v[58:59], v[58:59], v[88:89], v[90:91]
	v_fma_f64 v[32:33], v[32:33], v[92:93], -v[104:105]
	v_fma_f64 v[40:41], v[40:41], v[96:97], -v[106:107]
	v_fma_f64 v[34:35], v[34:35], v[92:93], v[94:95]
	v_fma_f64 v[42:43], v[42:43], v[96:97], v[98:99]
	v_add_f64_e32 v[76:77], v[20:21], v[44:45]
	v_add_f64_e32 v[60:61], v[44:45], v[52:53]
	v_add_f64_e64 v[44:45], v[44:45], -v[52:53]
	v_add_f64_e32 v[62:63], v[46:47], v[54:55]
	v_add_f64_e64 v[78:79], v[46:47], -v[54:55]
	v_add_f64_e32 v[64:65], v[28:29], v[36:37]
	v_add_f64_e32 v[46:47], v[22:23], v[46:47]
	v_add_f64_e32 v[66:67], v[30:31], v[38:39]
	v_add_f64_e32 v[80:81], v[16:17], v[28:29]
	v_add_f64_e32 v[68:69], v[48:49], v[56:57]
	v_add_f64_e32 v[82:83], v[18:19], v[30:31]
	v_add_f64_e32 v[70:71], v[50:51], v[58:59]
	v_add_f64_e64 v[92:93], v[30:31], -v[38:39]
	v_add_f64_e32 v[72:73], v[32:33], v[40:41]
	v_add_f64_e64 v[94:95], v[28:29], -v[36:37]
	v_add_f64_e32 v[74:75], v[34:35], v[42:43]
	v_add_f64_e32 v[88:89], v[0:1], v[32:33]
	;; [unrolled: 1-line block ×5, first 2 shown]
	v_add_f64_e64 v[50:51], v[50:51], -v[58:59]
	v_add_f64_e64 v[96:97], v[48:49], -v[56:57]
	;; [unrolled: 1-line block ×4, first 2 shown]
	v_fma_f64 v[60:61], v[60:61], -0.5, v[20:21]
	v_fma_f64 v[62:63], v[62:63], -0.5, v[22:23]
	;; [unrolled: 1-line block ×4, first 2 shown]
	v_add_f64_e32 v[16:17], v[80:81], v[36:37]
	v_fma_f64 v[68:69], v[68:69], -0.5, v[24:25]
	v_add_f64_e32 v[18:19], v[82:83], v[38:39]
	v_fma_f64 v[70:71], v[70:71], -0.5, v[26:27]
	v_fma_f64 v[72:73], v[72:73], -0.5, v[0:1]
	v_add_f64_e32 v[0:1], v[76:77], v[52:53]
	v_fma_f64 v[74:75], v[74:75], -0.5, v[2:3]
	v_add_f64_e32 v[2:3], v[46:47], v[54:55]
	v_add_f64_e32 v[24:25], v[88:89], v[40:41]
	;; [unrolled: 1-line block ×5, first 2 shown]
	v_fma_f64 v[28:29], v[78:79], s[2:3], v[60:61]
	s_wait_alu 0xfffe
	v_fma_f64 v[32:33], v[78:79], s[6:7], v[60:61]
	v_fma_f64 v[30:31], v[44:45], s[6:7], v[62:63]
	;; [unrolled: 1-line block ×15, first 2 shown]
	v_and_b32_e32 v60, 0xffff, v108
	v_and_b32_e32 v61, 0xffff, v109
	;; [unrolled: 1-line block ×4, first 2 shown]
	v_lshlrev_b32_e32 v64, 4, v112
	v_mad_u32_u24 v60, 0x270, v60, 0
	v_mad_u32_u24 v61, 0x270, v61, 0
	v_lshlrev_b32_e32 v65, 4, v113
	v_mad_u32_u24 v62, 0x270, v62, 0
	v_mad_u32_u24 v63, 0x270, v63, 0
	v_add3_u32 v60, v60, v64, v255
	v_lshlrev_b32_e32 v64, 4, v114
	v_add3_u32 v61, v61, v65, v255
	v_lshlrev_b32_e32 v65, 4, v115
	s_delay_alu instid0(VALU_DEP_3) | instskip(NEXT) | instid1(VALU_DEP_2)
	v_add3_u32 v62, v62, v64, v255
	v_add3_u32 v63, v63, v65, v255
	ds_store_b128 v60, v[0:3]
	ds_store_b128 v60, v[28:31] offset:208
	ds_store_b128 v60, v[32:35] offset:416
	ds_store_b128 v61, v[16:19]
	ds_store_b128 v61, v[36:39] offset:208
	ds_store_b128 v61, v[40:43] offset:416
	;; [unrolled: 3-line block ×4, first 2 shown]
	s_and_saveexec_b32 s1, s0
	s_cbranch_execz .LBB0_22
; %bb.21:
	v_add_nc_u16 v0, v229, 0x9c
	s_delay_alu instid0(VALU_DEP_1) | instskip(NEXT) | instid1(VALU_DEP_1)
	v_and_b32_e32 v1, 0xff, v0
	v_mul_lo_u16 v1, 0x4f, v1
	s_delay_alu instid0(VALU_DEP_1) | instskip(NEXT) | instid1(VALU_DEP_1)
	v_lshrrev_b16 v24, 10, v1
	v_mul_lo_u16 v1, v24, 13
	s_delay_alu instid0(VALU_DEP_1) | instskip(NEXT) | instid1(VALU_DEP_1)
	v_sub_nc_u16 v0, v0, v1
	v_and_b32_e32 v25, 0xff, v0
	s_delay_alu instid0(VALU_DEP_1)
	v_lshlrev_b32_e32 v16, 5, v25
	s_clause 0x1
	global_load_b128 v[0:3], v16, s[4:5]
	global_load_b128 v[16:19], v16, s[4:5] offset:16
	s_wait_loadcnt 0x1
	v_mul_f64_e32 v[20:21], v[8:9], v[2:3]
	s_wait_loadcnt 0x0
	v_mul_f64_e32 v[22:23], v[12:13], v[18:19]
	v_mul_f64_e32 v[2:3], v[10:11], v[2:3]
	;; [unrolled: 1-line block ×3, first 2 shown]
	s_delay_alu instid0(VALU_DEP_4) | instskip(NEXT) | instid1(VALU_DEP_4)
	v_fma_f64 v[10:11], v[10:11], v[0:1], v[20:21]
	v_fma_f64 v[14:15], v[14:15], v[16:17], v[22:23]
	s_delay_alu instid0(VALU_DEP_4) | instskip(NEXT) | instid1(VALU_DEP_4)
	v_fma_f64 v[0:1], v[8:9], v[0:1], -v[2:3]
	v_fma_f64 v[8:9], v[12:13], v[16:17], -v[18:19]
	s_delay_alu instid0(VALU_DEP_4) | instskip(NEXT) | instid1(VALU_DEP_4)
	v_add_f64_e32 v[18:19], v[6:7], v[10:11]
	v_add_f64_e32 v[2:3], v[10:11], v[14:15]
	v_add_f64_e64 v[22:23], v[10:11], -v[14:15]
	s_delay_alu instid0(VALU_DEP_4)
	v_add_f64_e32 v[12:13], v[0:1], v[8:9]
	v_add_f64_e64 v[16:17], v[0:1], -v[8:9]
	v_add_f64_e32 v[0:1], v[4:5], v[0:1]
	v_fma_f64 v[20:21], v[2:3], -0.5, v[6:7]
	v_add_f64_e32 v[2:3], v[18:19], v[14:15]
	v_fma_f64 v[4:5], v[12:13], -0.5, v[4:5]
	v_and_b32_e32 v12, 0xffff, v24
	v_add_f64_e32 v[0:1], v[0:1], v[8:9]
	v_lshlrev_b32_e32 v13, 4, v25
	s_delay_alu instid0(VALU_DEP_3) | instskip(NEXT) | instid1(VALU_DEP_1)
	v_mad_u32_u24 v12, 0x270, v12, 0
	v_add3_u32 v12, v12, v13, v255
	v_fma_f64 v[10:11], v[16:17], s[6:7], v[20:21]
	v_fma_f64 v[6:7], v[16:17], s[2:3], v[20:21]
	;; [unrolled: 1-line block ×4, first 2 shown]
	ds_store_b128 v12, v[0:3]
	ds_store_b128 v12, v[8:11] offset:208
	ds_store_b128 v12, v[4:7] offset:416
.LBB0_22:
	s_wait_alu 0xfffe
	s_or_b32 exec_lo, exec_lo, s1
	v_mul_u32_u24_e32 v0, 6, v229
	global_wb scope:SCOPE_SE
	s_wait_dscnt 0x0
	s_barrier_signal -1
	s_barrier_wait -1
	global_inv scope:SCOPE_SE
	v_lshlrev_b32_e32 v20, 4, v0
	s_mov_b32 s0, 0x37e14327
	s_mov_b32 s2, 0x36b3c0b5
	;; [unrolled: 1-line block ×4, first 2 shown]
	s_clause 0x5
	global_load_b128 v[0:3], v20, s[4:5] offset:416
	global_load_b128 v[4:7], v20, s[4:5] offset:432
	;; [unrolled: 1-line block ×6, first 2 shown]
	ds_load_b128 v[24:27], v230 offset:1248
	ds_load_b128 v[28:31], v230 offset:2496
	ds_load_b128 v[32:35], v230 offset:7488
	ds_load_b128 v[36:39], v230 offset:6240
	ds_load_b128 v[40:43], v230 offset:1872
	ds_load_b128 v[44:47], v230 offset:3120
	ds_load_b128 v[48:51], v230 offset:8112
	ds_load_b128 v[52:55], v230 offset:6864
	ds_load_b128 v[56:59], v230 offset:4992
	ds_load_b128 v[68:71], v230 offset:3744
	ds_load_b128 v[72:75], v230 offset:4368
	ds_load_b128 v[76:79], v230 offset:5616
	s_mov_b32 s1, 0x3fe948f6
	s_mov_b32 s3, 0x3fac98ee
	;; [unrolled: 1-line block ×9, first 2 shown]
	s_wait_alu 0xfffe
	s_mov_b32 s16, s14
	s_wait_loadcnt_dscnt 0x50b
	v_mul_f64_e32 v[60:61], v[26:27], v[2:3]
	v_mul_f64_e32 v[62:63], v[24:25], v[2:3]
	s_wait_loadcnt_dscnt 0x40a
	v_mul_f64_e32 v[64:65], v[30:31], v[6:7]
	v_mul_f64_e32 v[66:67], v[28:29], v[6:7]
	;; [unrolled: 3-line block ×4, first 2 shown]
	s_wait_dscnt 0x7
	v_mul_f64_e32 v[88:89], v[42:43], v[2:3]
	v_mul_f64_e32 v[2:3], v[40:41], v[2:3]
	s_wait_dscnt 0x6
	v_mul_f64_e32 v[90:91], v[46:47], v[6:7]
	v_mul_f64_e32 v[6:7], v[44:45], v[6:7]
	;; [unrolled: 3-line block ×4, first 2 shown]
	s_wait_loadcnt_dscnt 0x102
	v_mul_f64_e32 v[96:97], v[70:71], v[18:19]
	v_mul_f64_e32 v[98:99], v[68:69], v[18:19]
	s_wait_loadcnt 0x0
	v_mul_f64_e32 v[100:101], v[58:59], v[22:23]
	v_mul_f64_e32 v[102:103], v[56:57], v[22:23]
	v_fma_f64 v[24:25], v[24:25], v[0:1], -v[60:61]
	v_fma_f64 v[26:27], v[26:27], v[0:1], v[62:63]
	v_fma_f64 v[28:29], v[28:29], v[4:5], -v[64:65]
	v_fma_f64 v[30:31], v[30:31], v[4:5], v[66:67]
	;; [unrolled: 2-line block ×4, first 2 shown]
	s_wait_dscnt 0x1
	v_mul_f64_e32 v[60:61], v[74:75], v[18:19]
	v_mul_f64_e32 v[18:19], v[72:73], v[18:19]
	s_wait_dscnt 0x0
	v_mul_f64_e32 v[62:63], v[78:79], v[22:23]
	v_mul_f64_e32 v[22:23], v[76:77], v[22:23]
	v_fma_f64 v[40:41], v[40:41], v[0:1], -v[88:89]
	v_fma_f64 v[0:1], v[42:43], v[0:1], v[2:3]
	v_fma_f64 v[2:3], v[44:45], v[4:5], -v[90:91]
	v_fma_f64 v[4:5], v[46:47], v[4:5], v[6:7]
	;; [unrolled: 2-line block ×6, first 2 shown]
	v_add_f64_e32 v[48:49], v[24:25], v[32:33]
	v_add_f64_e32 v[50:51], v[26:27], v[34:35]
	;; [unrolled: 1-line block ×4, first 2 shown]
	v_fma_f64 v[56:57], v[72:73], v[16:17], -v[60:61]
	v_fma_f64 v[16:17], v[74:75], v[16:17], v[18:19]
	v_fma_f64 v[18:19], v[76:77], v[20:21], -v[62:63]
	v_fma_f64 v[20:21], v[78:79], v[20:21], v[22:23]
	v_add_f64_e64 v[28:29], v[28:29], -v[36:37]
	v_add_f64_e64 v[30:31], v[30:31], -v[38:39]
	;; [unrolled: 1-line block ×4, first 2 shown]
	v_add_f64_e32 v[22:23], v[40:41], v[6:7]
	v_add_f64_e32 v[58:59], v[0:1], v[8:9]
	;; [unrolled: 1-line block ×4, first 2 shown]
	v_add_f64_e64 v[10:11], v[2:3], -v[10:11]
	v_add_f64_e64 v[12:13], v[4:5], -v[12:13]
	v_add_f64_e32 v[64:65], v[14:15], v[44:45]
	v_add_f64_e32 v[66:67], v[42:43], v[46:47]
	v_add_f64_e64 v[14:15], v[44:45], -v[14:15]
	v_add_f64_e64 v[36:37], v[46:47], -v[42:43]
	;; [unrolled: 1-line block ×3, first 2 shown]
	v_add_f64_e32 v[32:33], v[52:53], v[48:49]
	v_add_f64_e32 v[34:35], v[54:55], v[50:51]
	;; [unrolled: 1-line block ×4, first 2 shown]
	v_add_f64_e64 v[18:19], v[18:19], -v[56:57]
	v_add_f64_e64 v[16:17], v[20:21], -v[16:17]
	;; [unrolled: 1-line block ×5, first 2 shown]
	ds_load_b128 v[0:3], v116
	ds_load_b128 v[4:7], v230 offset:624
	v_add_f64_e32 v[40:41], v[60:61], v[22:23]
	v_add_f64_e32 v[44:45], v[62:63], v[58:59]
	v_add_f64_e64 v[46:47], v[48:49], -v[64:65]
	v_add_f64_e64 v[56:57], v[50:51], -v[66:67]
	;; [unrolled: 1-line block ×9, first 2 shown]
	v_add_f64_e32 v[28:29], v[14:15], v[28:29]
	v_add_f64_e32 v[30:31], v[36:37], v[30:31]
	v_add_f64_e64 v[14:15], v[24:25], -v[14:15]
	v_add_f64_e64 v[36:37], v[26:27], -v[36:37]
	v_add_f64_e32 v[32:33], v[64:65], v[32:33]
	v_add_f64_e32 v[34:35], v[66:67], v[34:35]
	v_add_f64_e64 v[64:65], v[22:23], -v[38:39]
	v_add_f64_e64 v[66:67], v[58:59], -v[42:43]
	;; [unrolled: 1-line block ×5, first 2 shown]
	v_add_f64_e32 v[10:11], v[18:19], v[10:11]
	v_add_f64_e32 v[12:13], v[16:17], v[12:13]
	v_mul_f64_e32 v[88:89], s[10:11], v[76:77]
	v_add_f64_e32 v[40:41], v[38:39], v[40:41]
	v_add_f64_e32 v[44:45], v[42:43], v[44:45]
	v_add_f64_e64 v[42:43], v[42:43], -v[62:63]
	v_add_f64_e64 v[38:39], v[38:39], -v[60:61]
	v_mul_f64_e32 v[46:47], s[0:1], v[46:47]
	v_mul_f64_e32 v[52:53], s[0:1], v[56:57]
	;; [unrolled: 1-line block ×7, first 2 shown]
	v_add_f64_e64 v[58:59], v[62:63], -v[58:59]
	v_add_f64_e64 v[22:23], v[60:61], -v[22:23]
	;; [unrolled: 1-line block ×4, first 2 shown]
	v_mul_f64_e32 v[94:95], s[10:11], v[86:87]
	v_add_f64_e32 v[24:25], v[28:29], v[24:25]
	v_add_f64_e32 v[26:27], v[30:31], v[26:27]
	s_wait_dscnt 0x1
	v_add_f64_e32 v[0:1], v[0:1], v[32:33]
	v_add_f64_e32 v[2:3], v[2:3], v[34:35]
	v_mul_f64_e32 v[64:65], s[0:1], v[64:65]
	v_mul_f64_e32 v[66:67], s[0:1], v[66:67]
	;; [unrolled: 1-line block ×3, first 2 shown]
	s_mov_b32 s0, 0x5476071b
	s_mov_b32 s1, 0x3fe77f67
	v_mul_f64_e32 v[82:83], s[6:7], v[82:83]
	v_mul_f64_e32 v[92:93], s[10:11], v[84:85]
	v_add_f64_e32 v[10:11], v[10:11], v[20:21]
	s_wait_dscnt 0x0
	v_add_f64_e32 v[4:5], v[4:5], v[40:41]
	v_add_f64_e32 v[6:7], v[6:7], v[44:45]
	v_mul_f64_e32 v[62:63], s[2:3], v[42:43]
	v_mul_f64_e32 v[60:61], s[2:3], v[38:39]
	v_add_f64_e32 v[8:9], v[12:13], v[8:9]
	v_fma_f64 v[12:13], v[68:69], s[2:3], v[46:47]
	v_fma_f64 v[20:21], v[70:71], s[2:3], v[52:53]
	s_wait_alu 0xfffe
	v_fma_f64 v[28:29], v[48:49], s[0:1], -v[54:55]
	v_fma_f64 v[30:31], v[50:51], s[0:1], -v[56:57]
	v_fma_f64 v[54:55], v[14:15], s[14:15], v[72:73]
	v_fma_f64 v[56:57], v[36:37], s[14:15], v[74:75]
	v_fma_f64 v[68:69], v[76:77], s[10:11], -v[72:73]
	v_fma_f64 v[70:71], v[78:79], s[10:11], -v[74:75]
	;; [unrolled: 1-line block ×4, first 2 shown]
	s_mov_b32 s7, 0xbfe77f67
	s_mov_b32 s6, s0
	s_wait_alu 0xfffe
	v_fma_f64 v[46:47], v[48:49], s[6:7], -v[46:47]
	v_fma_f64 v[48:49], v[50:51], s[6:7], -v[52:53]
	v_fma_f64 v[32:33], v[32:33], s[12:13], v[0:1]
	v_fma_f64 v[34:35], v[34:35], s[12:13], v[2:3]
	;; [unrolled: 1-line block ×4, first 2 shown]
	v_fma_f64 v[72:73], v[84:85], s[10:11], -v[80:81]
	v_fma_f64 v[66:67], v[58:59], s[6:7], -v[66:67]
	;; [unrolled: 1-line block ×3, first 2 shown]
	v_fma_f64 v[50:51], v[18:19], s[14:15], v[80:81]
	v_fma_f64 v[52:53], v[16:17], s[14:15], v[82:83]
	v_fma_f64 v[74:75], v[86:87], s[10:11], -v[82:83]
	v_fma_f64 v[18:19], v[18:19], s[16:17], -v[92:93]
	v_fma_f64 v[44:45], v[44:45], s[12:13], v[6:7]
	v_fma_f64 v[58:59], v[58:59], s[0:1], -v[62:63]
	v_fma_f64 v[22:23], v[22:23], s[0:1], -v[60:61]
	s_mov_b32 s0, 0x37c3f68c
	s_mov_b32 s1, 0x3fdc38aa
	v_fma_f64 v[16:17], v[16:17], s[16:17], -v[94:95]
	v_fma_f64 v[40:41], v[40:41], s[12:13], v[4:5]
	s_wait_alu 0xfffe
	v_fma_f64 v[54:55], v[24:25], s[0:1], v[54:55]
	v_fma_f64 v[56:57], v[26:27], s[0:1], v[56:57]
	;; [unrolled: 1-line block ×6, first 2 shown]
	v_add_f64_e32 v[36:37], v[12:13], v[32:33]
	v_add_f64_e32 v[70:71], v[20:21], v[34:35]
	v_add_f64_e32 v[20:21], v[28:29], v[32:33]
	v_add_f64_e32 v[28:29], v[30:31], v[34:35]
	v_add_f64_e32 v[26:27], v[46:47], v[32:33]
	v_add_f64_e32 v[46:47], v[48:49], v[34:35]
	v_fma_f64 v[48:49], v[10:11], s[0:1], v[72:73]
	v_fma_f64 v[76:77], v[10:11], s[0:1], v[50:51]
	;; [unrolled: 1-line block ×5, first 2 shown]
	v_add_f64_e32 v[80:81], v[42:43], v[44:45]
	v_add_f64_e32 v[58:59], v[58:59], v[44:45]
	;; [unrolled: 1-line block ×3, first 2 shown]
	v_fma_f64 v[74:75], v[8:9], s[0:1], v[16:17]
	v_add_f64_e32 v[82:83], v[22:23], v[40:41]
	v_add_f64_e32 v[78:79], v[38:39], v[40:41]
	v_add_f64_e32 v[64:65], v[64:65], v[40:41]
	v_add_f64_e32 v[8:9], v[56:57], v[36:37]
	v_add_f64_e64 v[10:11], v[70:71], -v[54:55]
	v_add_f64_e64 v[16:17], v[20:21], -v[62:63]
	v_add_f64_e32 v[18:19], v[60:61], v[28:29]
	v_add_f64_e64 v[22:23], v[28:29], -v[60:61]
	v_add_f64_e64 v[28:29], v[36:37], -v[56:57]
	scratch_load_b64 v[56:57], off, off th:TH_LOAD_LU ; 8-byte Folded Reload
	v_add_f64_e32 v[12:13], v[24:25], v[26:27]
	v_add_f64_e64 v[14:15], v[46:47], -v[68:69]
	v_add_f64_e64 v[24:25], v[26:27], -v[24:25]
	v_add_f64_e32 v[26:27], v[68:69], v[46:47]
	v_add_f64_e32 v[20:21], v[62:63], v[20:21]
	;; [unrolled: 1-line block ×3, first 2 shown]
	v_add_f64_e64 v[34:35], v[80:81], -v[76:77]
	v_add_f64_e32 v[42:43], v[48:49], v[58:59]
	v_add_f64_e64 v[46:47], v[58:59], -v[48:49]
	scratch_load_b64 v[58:59], off, off offset:104 th:TH_LOAD_LU ; 8-byte Folded Reload
	v_add_f64_e64 v[38:39], v[66:67], -v[72:73]
	v_add_f64_e32 v[54:55], v[76:77], v[80:81]
	v_add_f64_e64 v[40:41], v[82:83], -v[50:51]
	v_add_f64_e32 v[32:33], v[52:53], v[78:79]
	v_add_f64_e32 v[36:37], v[74:75], v[64:65]
	;; [unrolled: 1-line block ×3, first 2 shown]
	v_add_f64_e64 v[48:49], v[64:65], -v[74:75]
	v_add_f64_e32 v[50:51], v[72:73], v[66:67]
	v_add_f64_e64 v[52:53], v[78:79], -v[52:53]
	global_wb scope:SCOPE_SE
	s_wait_loadcnt 0x0
	s_barrier_signal -1
	s_barrier_wait -1
	global_inv scope:SCOPE_SE
	ds_store_b128 v230, v[0:3]
	ds_store_b128 v230, v[8:11] offset:624
	ds_store_b128 v230, v[12:15] offset:1248
	;; [unrolled: 1-line block ×13, first 2 shown]
	global_wb scope:SCOPE_SE
	s_wait_dscnt 0x0
	s_barrier_signal -1
	s_barrier_wait -1
	global_inv scope:SCOPE_SE
	v_add_co_u32 v56, s0, s4, v56
	s_wait_alu 0xf1ff
	v_add_co_ci_u32_e64 v57, s0, s5, v57, s0
	v_add_co_u32 v58, s0, s4, v58
	s_wait_alu 0xf1ff
	v_add_co_ci_u32_e64 v59, s0, s5, v59, s0
	s_clause 0x6
	global_load_b128 v[0:3], v[56:57], off offset:4160
	global_load_b128 v[4:7], v[58:59], off offset:4784
	;; [unrolled: 1-line block ×7, first 2 shown]
	ds_load_b128 v[28:31], v230 offset:4368
	ds_load_b128 v[32:35], v230 offset:4992
	;; [unrolled: 1-line block ×8, first 2 shown]
	s_wait_loadcnt_dscnt 0x607
	v_mul_f64_e32 v[60:61], v[30:31], v[2:3]
	s_wait_loadcnt_dscnt 0x506
	v_mul_f64_e32 v[62:63], v[34:35], v[6:7]
	;; [unrolled: 2-line block ×7, first 2 shown]
	v_mul_f64_e32 v[2:3], v[28:29], v[2:3]
	v_mul_f64_e32 v[6:7], v[32:33], v[6:7]
	;; [unrolled: 1-line block ×7, first 2 shown]
	v_fma_f64 v[28:29], v[28:29], v[0:1], -v[60:61]
	v_fma_f64 v[32:33], v[32:33], v[4:5], -v[62:63]
	;; [unrolled: 1-line block ×7, first 2 shown]
	v_fma_f64 v[30:31], v[30:31], v[0:1], v[2:3]
	v_fma_f64 v[34:35], v[34:35], v[4:5], v[6:7]
	;; [unrolled: 1-line block ×6, first 2 shown]
	ds_load_b128 v[0:3], v116
	ds_load_b128 v[4:7], v230 offset:624
	ds_load_b128 v[8:11], v230 offset:1248
	;; [unrolled: 1-line block ×5, first 2 shown]
	v_fma_f64 v[54:55], v[54:55], v[24:25], v[26:27]
	s_wait_dscnt 0x5
	v_add_f64_e64 v[24:25], v[0:1], -v[28:29]
	s_wait_dscnt 0x4
	v_add_f64_e64 v[28:29], v[4:5], -v[32:33]
	;; [unrolled: 2-line block ×6, first 2 shown]
	v_add_f64_e64 v[48:49], v[56:57], -v[52:53]
	v_add_f64_e64 v[26:27], v[2:3], -v[30:31]
	;; [unrolled: 1-line block ×8, first 2 shown]
	v_fma_f64 v[0:1], v[0:1], 2.0, -v[24:25]
	v_fma_f64 v[4:5], v[4:5], 2.0, -v[28:29]
	;; [unrolled: 1-line block ×7, first 2 shown]
	scratch_load_b32 v56, off, off offset:96 th:TH_LOAD_LU ; 4-byte Folded Reload
	v_fma_f64 v[2:3], v[2:3], 2.0, -v[26:27]
	v_fma_f64 v[6:7], v[6:7], 2.0, -v[30:31]
	v_fma_f64 v[10:11], v[10:11], 2.0, -v[34:35]
	v_fma_f64 v[14:15], v[14:15], 2.0, -v[38:39]
	v_fma_f64 v[18:19], v[18:19], 2.0, -v[42:43]
	v_fma_f64 v[22:23], v[22:23], 2.0, -v[46:47]
	v_fma_f64 v[54:55], v[58:59], 2.0, -v[50:51]
	v_lshl_add_u32 v57, v229, 4, 0
	global_wb scope:SCOPE_SE
	s_wait_loadcnt 0x0
	s_barrier_signal -1
	s_barrier_wait -1
	global_inv scope:SCOPE_SE
	v_lshl_add_u32 v56, v56, 4, v57
	ds_store_b128 v56, v[28:31] offset:4992
	ds_store_b128 v56, v[32:35] offset:5616
	;; [unrolled: 1-line block ×6, first 2 shown]
	ds_store_b128 v230, v[0:3]
	ds_store_b128 v230, v[4:7] offset:624
	ds_store_b128 v230, v[8:11] offset:1248
	;; [unrolled: 1-line block ×7, first 2 shown]
	global_wb scope:SCOPE_SE
	s_wait_dscnt 0x0
	s_barrier_signal -1
	s_barrier_wait -1
	global_inv scope:SCOPE_SE
	s_and_saveexec_b32 s0, vcc_lo
	s_cbranch_execz .LBB0_24
; %bb.23:
	scratch_load_b32 v0, off, off offset:100 th:TH_LOAD_LU ; 4-byte Folded Reload
	v_mov_b32_e32 v230, 0
	v_add_nc_u32_e32 v8, 39, v229
	v_add_nc_u32_e32 v10, 0x4e, v229
	;; [unrolled: 1-line block ×3, first 2 shown]
	s_delay_alu instid0(VALU_DEP_4) | instskip(SKIP_3) | instid1(VALU_DEP_3)
	v_dual_mov_b32 v25, v230 :: v_dual_add_nc_u32 v24, 0x9c, v229
	v_mov_b32_e32 v9, v230
	v_mov_b32_e32 v11, v230
	;; [unrolled: 1-line block ×3, first 2 shown]
	v_lshlrev_b64_e32 v[18:19], 4, v[8:9]
	s_delay_alu instid0(VALU_DEP_3) | instskip(NEXT) | instid1(VALU_DEP_3)
	v_lshlrev_b64_e32 v[20:21], 4, v[10:11]
	v_lshlrev_b64_e32 v[22:23], 4, v[22:23]
	s_wait_loadcnt 0x0
	v_lshl_add_u32 v34, v229, 4, v0
	scratch_load_b64 v[0:1], off, off offset:88 th:TH_LOAD_LU ; 8-byte Folded Reload
	s_wait_loadcnt 0x0
	v_add_co_u32 v36, vcc_lo, s8, v0
	s_wait_alu 0xfffd
	v_add_co_ci_u32_e32 v37, vcc_lo, s9, v1, vcc_lo
	v_lshlrev_b64_e32 v[0:1], 4, v[229:230]
	s_delay_alu instid0(VALU_DEP_1) | instskip(SKIP_1) | instid1(VALU_DEP_2)
	v_add_co_u32 v16, vcc_lo, v36, v0
	s_wait_alu 0xfffd
	v_add_co_ci_u32_e32 v17, vcc_lo, v37, v1, vcc_lo
	ds_load_b128 v[0:3], v34
	ds_load_b128 v[4:7], v34 offset:624
	ds_load_b128 v[8:11], v34 offset:1248
	;; [unrolled: 1-line block ×3, first 2 shown]
	v_add_co_u32 v18, vcc_lo, v36, v18
	s_wait_alu 0xfffd
	v_add_co_ci_u32_e32 v19, vcc_lo, v37, v19, vcc_lo
	v_add_co_u32 v20, vcc_lo, v36, v20
	s_wait_alu 0xfffd
	v_add_co_ci_u32_e32 v21, vcc_lo, v37, v21, vcc_lo
	v_add_co_u32 v22, vcc_lo, v36, v22
	s_wait_alu 0xfffd
	v_add_co_ci_u32_e32 v23, vcc_lo, v37, v23, vcc_lo
	s_wait_dscnt 0x3
	global_store_b128 v[16:17], v[0:3], off
	s_wait_dscnt 0x2
	global_store_b128 v[18:19], v[4:7], off
	;; [unrolled: 2-line block ×4, first 2 shown]
	v_lshlrev_b64_e32 v[0:1], 4, v[24:25]
	v_dual_mov_b32 v9, v230 :: v_dual_add_nc_u32 v8, 0xc3, v229
	v_dual_mov_b32 v11, v230 :: v_dual_add_nc_u32 v10, 0xea, v229
	;; [unrolled: 1-line block ×3, first 2 shown]
	s_delay_alu instid0(VALU_DEP_4)
	v_add_co_u32 v16, vcc_lo, v36, v0
	s_wait_alu 0xfffd
	v_add_co_ci_u32_e32 v17, vcc_lo, v37, v1, vcc_lo
	ds_load_b128 v[0:3], v34 offset:2496
	ds_load_b128 v[4:7], v34 offset:3120
	v_lshlrev_b64_e32 v[18:19], 4, v[8:9]
	v_lshlrev_b64_e32 v[20:21], 4, v[10:11]
	ds_load_b128 v[8:11], v34 offset:3744
	ds_load_b128 v[12:15], v34 offset:4368
	v_lshlrev_b64_e32 v[22:23], 4, v[22:23]
	v_add_nc_u32_e32 v24, 0x138, v229
	v_add_co_u32 v18, vcc_lo, v36, v18
	s_wait_alu 0xfffd
	v_add_co_ci_u32_e32 v19, vcc_lo, v37, v19, vcc_lo
	v_add_co_u32 v20, vcc_lo, v36, v20
	s_wait_alu 0xfffd
	v_add_co_ci_u32_e32 v21, vcc_lo, v37, v21, vcc_lo
	;; [unrolled: 3-line block ×3, first 2 shown]
	s_wait_dscnt 0x3
	global_store_b128 v[16:17], v[0:3], off
	s_wait_dscnt 0x2
	global_store_b128 v[18:19], v[4:7], off
	;; [unrolled: 2-line block ×4, first 2 shown]
	v_add_nc_u32_e32 v2, 0x15f, v229
	v_add_nc_u32_e32 v10, 0x186, v229
	;; [unrolled: 1-line block ×5, first 2 shown]
	v_mov_b32_e32 v19, v230
	v_mov_b32_e32 v3, v230
	v_lshlrev_b64_e32 v[0:1], 4, v[24:25]
	v_mov_b32_e32 v11, v230
	v_mov_b32_e32 v17, v230
	v_lshlrev_b64_e32 v[32:33], 4, v[18:19]
	v_lshlrev_b64_e32 v[8:9], 4, v[2:3]
	v_add_co_u32 v24, vcc_lo, v36, v0
	s_wait_alu 0xfffd
	v_add_co_ci_u32_e32 v25, vcc_lo, v37, v1, vcc_lo
	s_delay_alu instid0(VALU_DEP_3)
	v_add_co_u32 v26, vcc_lo, v36, v8
	s_wait_alu 0xfffd
	v_add_co_ci_u32_e32 v27, vcc_lo, v37, v9, vcc_lo
	v_lshlrev_b64_e32 v[8:9], 4, v[10:11]
	ds_load_b128 v[0:3], v34 offset:4992
	ds_load_b128 v[4:7], v34 offset:5616
	v_lshlrev_b64_e32 v[30:31], 4, v[16:17]
	v_add_co_u32 v28, vcc_lo, v36, v8
	s_wait_alu 0xfffd
	v_add_co_ci_u32_e32 v29, vcc_lo, v37, v9, vcc_lo
	ds_load_b128 v[8:11], v34 offset:6240
	ds_load_b128 v[12:15], v34 offset:6864
	;; [unrolled: 1-line block ×4, first 2 shown]
	v_add_co_u32 v30, vcc_lo, v36, v30
	v_lshlrev_b64_e32 v[34:35], 4, v[229:230]
	s_wait_alu 0xfffd
	v_add_co_ci_u32_e32 v31, vcc_lo, v37, v31, vcc_lo
	v_add_co_u32 v32, vcc_lo, v36, v32
	s_wait_alu 0xfffd
	v_add_co_ci_u32_e32 v33, vcc_lo, v37, v33, vcc_lo
	v_add_co_u32 v34, vcc_lo, v36, v34
	s_wait_alu 0xfffd
	v_add_co_ci_u32_e32 v35, vcc_lo, v37, v35, vcc_lo
	s_wait_dscnt 0x5
	global_store_b128 v[24:25], v[0:3], off
	s_wait_dscnt 0x4
	global_store_b128 v[26:27], v[4:7], off
	;; [unrolled: 2-line block ×6, first 2 shown]
.LBB0_24:
	s_nop 0
	s_sendmsg sendmsg(MSG_DEALLOC_VGPRS)
	s_endpgm
	.section	.rodata,"a",@progbits
	.p2align	6, 0x0
	.amdhsa_kernel fft_rtc_fwd_len546_factors_13_3_7_2_wgs_117_tpt_39_halfLds_dp_ip_CI_unitstride_sbrr_C2R_dirReg
		.amdhsa_group_segment_fixed_size 0
		.amdhsa_private_segment_fixed_size 568
		.amdhsa_kernarg_size 88
		.amdhsa_user_sgpr_count 2
		.amdhsa_user_sgpr_dispatch_ptr 0
		.amdhsa_user_sgpr_queue_ptr 0
		.amdhsa_user_sgpr_kernarg_segment_ptr 1
		.amdhsa_user_sgpr_dispatch_id 0
		.amdhsa_user_sgpr_private_segment_size 0
		.amdhsa_wavefront_size32 1
		.amdhsa_uses_dynamic_stack 0
		.amdhsa_enable_private_segment 1
		.amdhsa_system_sgpr_workgroup_id_x 1
		.amdhsa_system_sgpr_workgroup_id_y 0
		.amdhsa_system_sgpr_workgroup_id_z 0
		.amdhsa_system_sgpr_workgroup_info 0
		.amdhsa_system_vgpr_workitem_id 0
		.amdhsa_next_free_vgpr 256
		.amdhsa_next_free_sgpr 44
		.amdhsa_reserve_vcc 1
		.amdhsa_float_round_mode_32 0
		.amdhsa_float_round_mode_16_64 0
		.amdhsa_float_denorm_mode_32 3
		.amdhsa_float_denorm_mode_16_64 3
		.amdhsa_fp16_overflow 0
		.amdhsa_workgroup_processor_mode 1
		.amdhsa_memory_ordered 1
		.amdhsa_forward_progress 0
		.amdhsa_round_robin_scheduling 0
		.amdhsa_exception_fp_ieee_invalid_op 0
		.amdhsa_exception_fp_denorm_src 0
		.amdhsa_exception_fp_ieee_div_zero 0
		.amdhsa_exception_fp_ieee_overflow 0
		.amdhsa_exception_fp_ieee_underflow 0
		.amdhsa_exception_fp_ieee_inexact 0
		.amdhsa_exception_int_div_zero 0
	.end_amdhsa_kernel
	.text
.Lfunc_end0:
	.size	fft_rtc_fwd_len546_factors_13_3_7_2_wgs_117_tpt_39_halfLds_dp_ip_CI_unitstride_sbrr_C2R_dirReg, .Lfunc_end0-fft_rtc_fwd_len546_factors_13_3_7_2_wgs_117_tpt_39_halfLds_dp_ip_CI_unitstride_sbrr_C2R_dirReg
                                        ; -- End function
	.section	.AMDGPU.csdata,"",@progbits
; Kernel info:
; codeLenInByte = 16316
; NumSgprs: 46
; NumVgprs: 256
; ScratchSize: 568
; MemoryBound: 0
; FloatMode: 240
; IeeeMode: 1
; LDSByteSize: 0 bytes/workgroup (compile time only)
; SGPRBlocks: 5
; VGPRBlocks: 31
; NumSGPRsForWavesPerEU: 46
; NumVGPRsForWavesPerEU: 256
; Occupancy: 5
; WaveLimiterHint : 1
; COMPUTE_PGM_RSRC2:SCRATCH_EN: 1
; COMPUTE_PGM_RSRC2:USER_SGPR: 2
; COMPUTE_PGM_RSRC2:TRAP_HANDLER: 0
; COMPUTE_PGM_RSRC2:TGID_X_EN: 1
; COMPUTE_PGM_RSRC2:TGID_Y_EN: 0
; COMPUTE_PGM_RSRC2:TGID_Z_EN: 0
; COMPUTE_PGM_RSRC2:TIDIG_COMP_CNT: 0
	.text
	.p2alignl 7, 3214868480
	.fill 96, 4, 3214868480
	.type	__hip_cuid_8ea23df023aeaab8,@object ; @__hip_cuid_8ea23df023aeaab8
	.section	.bss,"aw",@nobits
	.globl	__hip_cuid_8ea23df023aeaab8
__hip_cuid_8ea23df023aeaab8:
	.byte	0                               ; 0x0
	.size	__hip_cuid_8ea23df023aeaab8, 1

	.ident	"AMD clang version 19.0.0git (https://github.com/RadeonOpenCompute/llvm-project roc-6.4.0 25133 c7fe45cf4b819c5991fe208aaa96edf142730f1d)"
	.section	".note.GNU-stack","",@progbits
	.addrsig
	.addrsig_sym __hip_cuid_8ea23df023aeaab8
	.amdgpu_metadata
---
amdhsa.kernels:
  - .args:
      - .actual_access:  read_only
        .address_space:  global
        .offset:         0
        .size:           8
        .value_kind:     global_buffer
      - .offset:         8
        .size:           8
        .value_kind:     by_value
      - .actual_access:  read_only
        .address_space:  global
        .offset:         16
        .size:           8
        .value_kind:     global_buffer
      - .actual_access:  read_only
        .address_space:  global
        .offset:         24
        .size:           8
        .value_kind:     global_buffer
      - .offset:         32
        .size:           8
        .value_kind:     by_value
      - .actual_access:  read_only
        .address_space:  global
        .offset:         40
        .size:           8
        .value_kind:     global_buffer
      - .actual_access:  read_only
        .address_space:  global
        .offset:         48
        .size:           8
        .value_kind:     global_buffer
      - .offset:         56
        .size:           4
        .value_kind:     by_value
      - .actual_access:  read_only
        .address_space:  global
        .offset:         64
        .size:           8
        .value_kind:     global_buffer
      - .actual_access:  read_only
        .address_space:  global
        .offset:         72
        .size:           8
        .value_kind:     global_buffer
      - .address_space:  global
        .offset:         80
        .size:           8
        .value_kind:     global_buffer
    .group_segment_fixed_size: 0
    .kernarg_segment_align: 8
    .kernarg_segment_size: 88
    .language:       OpenCL C
    .language_version:
      - 2
      - 0
    .max_flat_workgroup_size: 117
    .name:           fft_rtc_fwd_len546_factors_13_3_7_2_wgs_117_tpt_39_halfLds_dp_ip_CI_unitstride_sbrr_C2R_dirReg
    .private_segment_fixed_size: 568
    .sgpr_count:     46
    .sgpr_spill_count: 0
    .symbol:         fft_rtc_fwd_len546_factors_13_3_7_2_wgs_117_tpt_39_halfLds_dp_ip_CI_unitstride_sbrr_C2R_dirReg.kd
    .uniform_work_group_size: 1
    .uses_dynamic_stack: false
    .vgpr_count:     256
    .vgpr_spill_count: 149
    .wavefront_size: 32
    .workgroup_processor_mode: 1
amdhsa.target:   amdgcn-amd-amdhsa--gfx1201
amdhsa.version:
  - 1
  - 2
...

	.end_amdgpu_metadata
